;; amdgpu-corpus repo=ROCm/rocFFT kind=compiled arch=gfx90a opt=O3
	.text
	.amdgcn_target "amdgcn-amd-amdhsa--gfx90a"
	.amdhsa_code_object_version 6
	.protected	bluestein_single_back_len1575_dim1_dp_op_CI_CI ; -- Begin function bluestein_single_back_len1575_dim1_dp_op_CI_CI
	.globl	bluestein_single_back_len1575_dim1_dp_op_CI_CI
	.p2align	8
	.type	bluestein_single_back_len1575_dim1_dp_op_CI_CI,@function
bluestein_single_back_len1575_dim1_dp_op_CI_CI: ; @bluestein_single_back_len1575_dim1_dp_op_CI_CI
; %bb.0:
	s_load_dwordx4 s[12:15], s[4:5], 0x28
	s_mov_b64 s[42:43], s[2:3]
	s_mov_b64 s[40:41], s[0:1]
	v_mul_u32_u24_e32 v1, 0x411, v0
	s_add_u32 s40, s40, s7
	v_add_u32_sdwa v6, s6, v1 dst_sel:DWORD dst_unused:UNUSED_PAD src0_sel:DWORD src1_sel:WORD_1
	v_mov_b32_e32 v7, 0
	s_addc_u32 s41, s41, 0
	s_waitcnt lgkmcnt(0)
	v_cmp_gt_u64_e32 vcc, s[12:13], v[6:7]
	s_and_saveexec_b64 s[0:1], vcc
	s_cbranch_execz .LBB0_31
; %bb.1:
	s_load_dwordx4 s[0:3], s[4:5], 0x18
	s_load_dwordx2 s[16:17], s[4:5], 0x0
	v_mov_b32_e32 v2, 63
	v_mul_lo_u16_sdwa v1, v1, v2 dst_sel:DWORD dst_unused:UNUSED_PAD src0_sel:WORD_1 src1_sel:DWORD
	v_sub_u16_e32 v176, v0, v1
	s_waitcnt lgkmcnt(0)
	s_load_dwordx4 s[8:11], s[0:1], 0x0
	v_lshlrev_b32_e32 v120, 4, v176
	v_add_co_u32_e64 v48, s[6:7], s16, v120
	global_load_dwordx4 v[62:65], v120, s[16:17]
	s_waitcnt lgkmcnt(0)
	v_mad_u64_u32 v[0:1], s[0:1], s10, v6, 0
	v_mov_b32_e32 v4, v1
	v_mad_u64_u32 v[2:3], s[0:1], s8, v176, 0
	v_mad_u64_u32 v[4:5], s[0:1], s11, v6, v[4:5]
	v_mov_b32_e32 v1, v4
	v_mov_b32_e32 v4, v3
	v_mad_u64_u32 v[4:5], s[0:1], s9, v176, v[4:5]
	v_lshlrev_b64 v[0:1], 4, v[0:1]
	v_mov_b32_e32 v3, v4
	v_mov_b32_e32 v4, s15
	v_add_co_u32_e32 v5, vcc, s14, v0
	v_addc_co_u32_e32 v4, vcc, v4, v1, vcc
	v_lshlrev_b64 v[0:1], 4, v[2:3]
	s_mul_i32 s0, s9, 0x20d
	s_mul_hi_u32 s1, s8, 0x20d
	v_add_co_u32_e32 v0, vcc, v5, v0
	v_mov_b32_e32 v2, s17
	s_add_i32 s1, s1, s0
	s_mul_i32 s0, s8, 0x20d
	v_addc_co_u32_e32 v1, vcc, v4, v1, vcc
	v_addc_co_u32_e64 v49, vcc, 0, v2, s[6:7]
	s_lshl_b64 s[14:15], s[0:1], 4
	v_mov_b32_e32 v45, s15
	v_add_co_u32_e32 v2, vcc, s14, v0
	v_accvgpr_write_b32 a72, v6
	v_addc_co_u32_e32 v3, vcc, v1, v45, vcc
	global_load_dwordx4 v[6:9], v[0:1], off
	global_load_dwordx4 v[10:13], v[2:3], off
	s_movk_i32 s0, 0x2000
	v_add_co_u32_e32 v4, vcc, s0, v48
	v_addc_co_u32_e32 v5, vcc, 0, v49, vcc
	v_add_co_u32_e32 v0, vcc, s14, v2
	v_addc_co_u32_e32 v1, vcc, v3, v45, vcc
	s_movk_i32 s0, 0x4000
	s_mul_hi_u32 s1, s8, 0xfffffc25
	v_add_co_u32_e32 v40, vcc, s0, v48
	s_mul_i32 s0, s9, 0xfffffc25
	s_sub_i32 s1, s1, s8
	s_add_i32 s1, s1, s0
	s_mul_i32 s0, s8, 0xfffffc25
	v_addc_co_u32_e32 v41, vcc, 0, v49, vcc
	s_lshl_b64 s[18:19], s[0:1], 4
	global_load_dwordx4 v[14:17], v[0:1], off
	v_mov_b32_e32 v44, s19
	v_add_co_u32_e32 v0, vcc, s18, v0
	v_addc_co_u32_e32 v1, vcc, v1, v44, vcc
	global_load_dwordx4 v[50:53], v[4:5], off offset:208
	global_load_dwordx4 v[54:57], v[40:41], off offset:416
	global_load_dwordx4 v[18:21], v[0:1], off
	global_load_dwordx4 v[66:69], v120, s[16:17] offset:1008
	v_add_co_u32_e32 v0, vcc, s14, v0
	v_addc_co_u32_e32 v1, vcc, v1, v45, vcc
	global_load_dwordx4 v[22:25], v[0:1], off
	global_load_dwordx4 v[70:73], v[4:5], off offset:1216
	v_add_co_u32_e32 v0, vcc, s14, v0
	v_addc_co_u32_e32 v1, vcc, v1, v45, vcc
	global_load_dwordx4 v[26:29], v[0:1], off
	global_load_dwordx4 v[74:77], v[40:41], off offset:1424
	v_add_co_u32_e32 v0, vcc, s18, v0
	v_addc_co_u32_e32 v1, vcc, v1, v44, vcc
	v_add_co_u32_e32 v38, vcc, s14, v0
	v_addc_co_u32_e32 v39, vcc, v1, v45, vcc
	global_load_dwordx4 v[30:33], v[0:1], off
	global_load_dwordx4 v[58:61], v120, s[16:17] offset:2016
	s_nop 0
	global_load_dwordx4 v[0:3], v[38:39], off
	global_load_dwordx4 v[78:81], v[4:5], off offset:2224
	s_load_dwordx2 s[12:13], s[4:5], 0x38
	s_load_dwordx4 s[8:11], s[2:3], 0x0
	s_movk_i32 s0, 0x3000
	v_accvgpr_write_b32 a0, v48
	s_waitcnt vmcnt(14)
	v_mul_f64 v[34:35], v[8:9], v[64:65]
	v_fmac_f64_e32 v[34:35], v[6:7], v[62:63]
	v_mul_f64 v[6:7], v[6:7], v[64:65]
	buffer_store_dword v62, off, s[40:43], 0 offset:260 ; 4-byte Folded Spill
	s_nop 0
	buffer_store_dword v63, off, s[40:43], 0 offset:264 ; 4-byte Folded Spill
	buffer_store_dword v64, off, s[40:43], 0 offset:268 ; 4-byte Folded Spill
	s_waitcnt vmcnt(3)
	v_accvgpr_write_b32 a4, v78
	v_accvgpr_write_b32 a5, v79
	;; [unrolled: 1-line block ×4, first 2 shown]
	v_fma_f64 v[36:37], v[8:9], v[62:63], -v[6:7]
	v_mul_f64 v[6:7], v[12:13], v[52:53]
	ds_write_b128 v120, v[34:37]
	v_fmac_f64_e32 v[6:7], v[10:11], v[50:51]
	v_mul_f64 v[8:9], v[10:11], v[52:53]
	buffer_store_dword v50, off, s[40:43], 0 offset:228 ; 4-byte Folded Spill
	s_nop 0
	buffer_store_dword v51, off, s[40:43], 0 offset:232 ; 4-byte Folded Spill
	buffer_store_dword v52, off, s[40:43], 0 offset:236 ; 4-byte Folded Spill
	;; [unrolled: 1-line block ×3, first 2 shown]
	v_accvgpr_write_b32 a39, v65            ;  Reload Reuse
	v_fma_f64 v[8:9], v[12:13], v[50:51], -v[8:9]
	ds_write_b128 v120, v[6:9] offset:8400
	v_mul_f64 v[6:7], v[16:17], v[56:57]
	v_fmac_f64_e32 v[6:7], v[14:15], v[54:55]
	v_mul_f64 v[8:9], v[14:15], v[56:57]
	buffer_store_dword v54, off, s[40:43], 0 offset:196 ; 4-byte Folded Spill
	s_nop 0
	buffer_store_dword v55, off, s[40:43], 0 offset:200 ; 4-byte Folded Spill
	buffer_store_dword v56, off, s[40:43], 0 offset:204 ; 4-byte Folded Spill
	;; [unrolled: 1-line block ×3, first 2 shown]
	v_fma_f64 v[8:9], v[16:17], v[54:55], -v[8:9]
	ds_write_b128 v120, v[6:9] offset:16800
	v_mul_f64 v[6:7], v[20:21], v[68:69]
	v_fmac_f64_e32 v[6:7], v[18:19], v[66:67]
	v_mul_f64 v[8:9], v[18:19], v[68:69]
	buffer_store_dword v66, off, s[40:43], 0 offset:180 ; 4-byte Folded Spill
	s_nop 0
	buffer_store_dword v67, off, s[40:43], 0 offset:184 ; 4-byte Folded Spill
	buffer_store_dword v68, off, s[40:43], 0 offset:188 ; 4-byte Folded Spill
	;; [unrolled: 1-line block ×3, first 2 shown]
	v_mul_f64 v[16:17], v[2:3], v[80:81]
	v_fmac_f64_e32 v[16:17], v[0:1], v[78:79]
	v_mul_f64 v[0:1], v[0:1], v[80:81]
	v_fma_f64 v[8:9], v[20:21], v[66:67], -v[8:9]
	ds_write_b128 v120, v[6:9] offset:1008
	v_mul_f64 v[6:7], v[24:25], v[72:73]
	v_fmac_f64_e32 v[6:7], v[22:23], v[70:71]
	v_mul_f64 v[8:9], v[22:23], v[72:73]
	buffer_store_dword v70, off, s[40:43], 0 offset:100 ; 4-byte Folded Spill
	s_nop 0
	buffer_store_dword v71, off, s[40:43], 0 offset:104 ; 4-byte Folded Spill
	buffer_store_dword v72, off, s[40:43], 0 offset:108 ; 4-byte Folded Spill
	;; [unrolled: 1-line block ×3, first 2 shown]
	v_fma_f64 v[8:9], v[24:25], v[70:71], -v[8:9]
	ds_write_b128 v120, v[6:9] offset:9408
	v_mul_f64 v[6:7], v[28:29], v[76:77]
	v_fmac_f64_e32 v[6:7], v[26:27], v[74:75]
	v_mul_f64 v[8:9], v[26:27], v[76:77]
	buffer_store_dword v74, off, s[40:43], 0 offset:68 ; 4-byte Folded Spill
	s_nop 0
	buffer_store_dword v75, off, s[40:43], 0 offset:72 ; 4-byte Folded Spill
	buffer_store_dword v76, off, s[40:43], 0 offset:76 ; 4-byte Folded Spill
	buffer_store_dword v77, off, s[40:43], 0 offset:80 ; 4-byte Folded Spill
	global_load_dwordx4 v[110:113], v120, s[16:17] offset:3024
	v_fma_f64 v[8:9], v[28:29], v[74:75], -v[8:9]
	ds_write_b128 v120, v[6:9] offset:17808
	v_mul_f64 v[6:7], v[32:33], v[60:61]
	v_fmac_f64_e32 v[6:7], v[30:31], v[58:59]
	v_mul_f64 v[8:9], v[30:31], v[60:61]
	buffer_store_dword v58, off, s[40:43], 0 offset:52 ; 4-byte Folded Spill
	s_nop 0
	buffer_store_dword v59, off, s[40:43], 0 offset:56 ; 4-byte Folded Spill
	buffer_store_dword v60, off, s[40:43], 0 offset:60 ; 4-byte Folded Spill
	;; [unrolled: 1-line block ×3, first 2 shown]
	global_load_dwordx4 v[130:133], v[4:5], off offset:3232
	v_add_co_u32_e32 v4, vcc, s14, v38
	v_addc_co_u32_e32 v5, vcc, v39, v45, vcc
	global_load_dwordx4 v[12:15], v[4:5], off
	v_add_co_u32_e32 v4, vcc, s18, v4
	v_addc_co_u32_e32 v5, vcc, v5, v44, vcc
	v_add_co_u32_e32 v18, vcc, s14, v4
	v_addc_co_u32_e32 v19, vcc, v5, v45, vcc
	v_fma_f64 v[8:9], v[32:33], v[58:59], -v[8:9]
	ds_write_b128 v120, v[6:9] offset:2016
	global_load_dwordx4 v[8:11], v[4:5], off
	s_nop 0
	global_load_dwordx4 v[4:7], v[18:19], off
	v_add_co_u32_e32 v18, vcc, s14, v18
	v_addc_co_u32_e32 v19, vcc, v19, v45, vcc
	global_load_dwordx4 v[20:23], v[18:19], off
	global_load_dwordx4 v[146:149], v[40:41], off offset:2432
	global_load_dwordx4 v[142:145], v[40:41], off offset:3440
	v_add_co_u32_e32 v18, vcc, s18, v18
	v_addc_co_u32_e32 v19, vcc, v19, v44, vcc
	v_add_co_u32_e32 v32, vcc, s14, v18
	v_addc_co_u32_e32 v33, vcc, v19, v45, vcc
	global_load_dwordx4 v[24:27], v[18:19], off
	global_load_dwordx4 v[94:97], v120, s[16:17] offset:4032
	v_add_co_u32_e32 v18, vcc, s0, v48
	v_addc_co_u32_e32 v19, vcc, 0, v49, vcc
	v_add_co_u32_e32 v36, vcc, s14, v32
	v_addc_co_u32_e32 v37, vcc, v33, v45, vcc
	s_movk_i32 s0, 0x5000
	v_add_co_u32_e32 v42, vcc, s0, v48
	v_addc_co_u32_e32 v43, vcc, 0, v49, vcc
	v_add_co_u32_e32 v46, vcc, s18, v36
	v_addc_co_u32_e32 v47, vcc, v37, v44, vcc
	s_movk_i32 s0, 0x1000
	v_add_co_u32_e32 v70, vcc, s0, v48
	v_addc_co_u32_e32 v71, vcc, 0, v49, vcc
	v_add_co_u32_e32 v50, vcc, s14, v46
	v_addc_co_u32_e32 v51, vcc, v47, v45, vcc
	;; [unrolled: 2-line block ×7, first 2 shown]
	v_add_co_u32_e32 v74, vcc, s14, v72
	buffer_store_dword v49, off, s[40:43], 0 offset:160 ; 4-byte Folded Spill
	v_addc_co_u32_e32 v75, vcc, v73, v45, vcc
	global_load_dwordx4 v[28:31], v[32:33], off
	global_load_dwordx4 v[98:101], v[18:19], off offset:144
	global_load_dwordx4 v[102:105], v[42:43], off offset:352
	;; [unrolled: 1-line block ×3, first 2 shown]
	v_add_co_u32_e32 v44, vcc, s14, v74
	global_load_dwordx4 v[32:35], v[36:37], off
	v_addc_co_u32_e32 v45, vcc, v75, v45, vcc
	global_load_dwordx4 v[36:39], v[46:47], off
	s_nop 0
	global_load_dwordx4 v[46:49], v[50:51], off
	global_load_dwordx4 v[134:137], v[18:19], off offset:1152
	s_nop 0
	global_load_dwordx4 v[50:53], v[54:55], off
	global_load_dwordx4 v[138:141], v[42:43], off offset:1360
	;; [unrolled: 3-line block ×7, first 2 shown]
	v_fma_f64 v[18:19], v[2:3], v[78:79], -v[0:1]
	s_waitcnt vmcnt(24)
	v_mul_f64 v[0:1], v[14:15], v[148:149]
	v_mul_f64 v[2:3], v[12:13], v[148:149]
	v_fmac_f64_e32 v[0:1], v[12:13], v[146:147]
	v_fma_f64 v[2:3], v[14:15], v[146:147], -v[2:3]
	global_load_dwordx4 v[74:77], v[44:45], off
	global_load_dwordx4 v[126:129], v[42:43], off offset:3376
	ds_write_b128 v120, v[0:3] offset:18816
	v_mul_f64 v[0:1], v[10:11], v[112:113]
	ds_write_b128 v120, v[16:19] offset:10416
	v_fmac_f64_e32 v[0:1], v[8:9], v[110:111]
	v_mul_f64 v[2:3], v[8:9], v[112:113]
	buffer_store_dword v110, off, s[40:43], 0 offset:404 ; 4-byte Folded Spill
	s_nop 0
	buffer_store_dword v111, off, s[40:43], 0 offset:408 ; 4-byte Folded Spill
	buffer_store_dword v112, off, s[40:43], 0 offset:412 ; 4-byte Folded Spill
	;; [unrolled: 1-line block ×3, first 2 shown]
	v_accvgpr_write_b32 a98, v146
	v_accvgpr_write_b32 a99, v147
	v_accvgpr_write_b32 a100, v148
	v_accvgpr_write_b32 a101, v149
	v_cmp_gt_u16_e64 s[0:1], 21, v176
	v_fma_f64 v[2:3], v[10:11], v[110:111], -v[2:3]
	ds_write_b128 v120, v[0:3] offset:3024
	v_mul_f64 v[0:1], v[6:7], v[132:133]
	v_fmac_f64_e32 v[0:1], v[4:5], v[130:131]
	v_mul_f64 v[2:3], v[4:5], v[132:133]
	buffer_store_dword v130, off, s[40:43], 0 offset:388 ; 4-byte Folded Spill
	s_nop 0
	buffer_store_dword v131, off, s[40:43], 0 offset:392 ; 4-byte Folded Spill
	buffer_store_dword v132, off, s[40:43], 0 offset:396 ; 4-byte Folded Spill
	buffer_store_dword v133, off, s[40:43], 0 offset:400 ; 4-byte Folded Spill
	v_fma_f64 v[2:3], v[6:7], v[130:131], -v[2:3]
	ds_write_b128 v120, v[0:3] offset:11424
	s_waitcnt vmcnt(33)
	v_mul_f64 v[0:1], v[22:23], v[144:145]
	v_fmac_f64_e32 v[0:1], v[20:21], v[142:143]
	v_mul_f64 v[2:3], v[20:21], v[144:145]
	buffer_store_dword v142, off, s[40:43], 0 offset:372 ; 4-byte Folded Spill
	s_nop 0
	buffer_store_dword v143, off, s[40:43], 0 offset:376 ; 4-byte Folded Spill
	buffer_store_dword v144, off, s[40:43], 0 offset:380 ; 4-byte Folded Spill
	buffer_store_dword v145, off, s[40:43], 0 offset:384 ; 4-byte Folded Spill
	v_fma_f64 v[2:3], v[22:23], v[142:143], -v[2:3]
	ds_write_b128 v120, v[0:3] offset:19824
	s_waitcnt vmcnt(35)
	v_mul_f64 v[0:1], v[26:27], v[96:97]
	v_fmac_f64_e32 v[0:1], v[24:25], v[94:95]
	v_mul_f64 v[2:3], v[24:25], v[96:97]
	buffer_store_dword v94, off, s[40:43], 0 offset:356 ; 4-byte Folded Spill
	s_nop 0
	buffer_store_dword v95, off, s[40:43], 0 offset:360 ; 4-byte Folded Spill
	buffer_store_dword v96, off, s[40:43], 0 offset:364 ; 4-byte Folded Spill
	buffer_store_dword v97, off, s[40:43], 0 offset:368 ; 4-byte Folded Spill
	v_fma_f64 v[2:3], v[26:27], v[94:95], -v[2:3]
	ds_write_b128 v120, v[0:3] offset:4032
	s_waitcnt vmcnt(36)
	v_mul_f64 v[0:1], v[30:31], v[100:101]
	v_fmac_f64_e32 v[0:1], v[28:29], v[98:99]
	v_mul_f64 v[2:3], v[28:29], v[100:101]
	buffer_store_dword v98, off, s[40:43], 0 offset:340 ; 4-byte Folded Spill
	s_nop 0
	buffer_store_dword v99, off, s[40:43], 0 offset:344 ; 4-byte Folded Spill
	buffer_store_dword v100, off, s[40:43], 0 offset:348 ; 4-byte Folded Spill
	buffer_store_dword v101, off, s[40:43], 0 offset:352 ; 4-byte Folded Spill
	v_fma_f64 v[2:3], v[30:31], v[98:99], -v[2:3]
	ds_write_b128 v120, v[0:3] offset:12432
	s_waitcnt vmcnt(37)
	v_mul_f64 v[0:1], v[34:35], v[104:105]
	v_fmac_f64_e32 v[0:1], v[32:33], v[102:103]
	v_mul_f64 v[2:3], v[32:33], v[104:105]
	buffer_store_dword v102, off, s[40:43], 0 offset:324 ; 4-byte Folded Spill
	s_nop 0
	buffer_store_dword v103, off, s[40:43], 0 offset:328 ; 4-byte Folded Spill
	buffer_store_dword v104, off, s[40:43], 0 offset:332 ; 4-byte Folded Spill
	buffer_store_dword v105, off, s[40:43], 0 offset:336 ; 4-byte Folded Spill
	v_fma_f64 v[2:3], v[34:35], v[102:103], -v[2:3]
	ds_write_b128 v120, v[0:3] offset:20832
	s_waitcnt vmcnt(40)
	v_mul_f64 v[0:1], v[38:39], v[124:125]
	v_fmac_f64_e32 v[0:1], v[36:37], v[122:123]
	v_mul_f64 v[2:3], v[36:37], v[124:125]
	buffer_store_dword v122, off, s[40:43], 0 offset:308 ; 4-byte Folded Spill
	s_nop 0
	buffer_store_dword v123, off, s[40:43], 0 offset:312 ; 4-byte Folded Spill
	buffer_store_dword v124, off, s[40:43], 0 offset:316 ; 4-byte Folded Spill
	buffer_store_dword v125, off, s[40:43], 0 offset:320 ; 4-byte Folded Spill
	v_fma_f64 v[2:3], v[38:39], v[122:123], -v[2:3]
	ds_write_b128 v120, v[0:3] offset:5040
	s_waitcnt vmcnt(42)
	v_mul_f64 v[0:1], v[48:49], v[136:137]
	v_fmac_f64_e32 v[0:1], v[46:47], v[134:135]
	v_mul_f64 v[2:3], v[46:47], v[136:137]
	buffer_store_dword v134, off, s[40:43], 0 offset:292 ; 4-byte Folded Spill
	s_nop 0
	buffer_store_dword v135, off, s[40:43], 0 offset:296 ; 4-byte Folded Spill
	buffer_store_dword v136, off, s[40:43], 0 offset:300 ; 4-byte Folded Spill
	buffer_store_dword v137, off, s[40:43], 0 offset:304 ; 4-byte Folded Spill
	v_fma_f64 v[2:3], v[48:49], v[134:135], -v[2:3]
	ds_write_b128 v120, v[0:3] offset:13440
	s_waitcnt vmcnt(44)
	v_mul_f64 v[0:1], v[52:53], v[140:141]
	v_fmac_f64_e32 v[0:1], v[50:51], v[138:139]
	v_mul_f64 v[2:3], v[50:51], v[140:141]
	buffer_store_dword v138, off, s[40:43], 0 offset:276 ; 4-byte Folded Spill
	s_nop 0
	buffer_store_dword v139, off, s[40:43], 0 offset:280 ; 4-byte Folded Spill
	buffer_store_dword v140, off, s[40:43], 0 offset:284 ; 4-byte Folded Spill
	buffer_store_dword v141, off, s[40:43], 0 offset:288 ; 4-byte Folded Spill
	v_fma_f64 v[2:3], v[52:53], v[138:139], -v[2:3]
	ds_write_b128 v120, v[0:3] offset:21840
	s_waitcnt vmcnt(46)
	v_mul_f64 v[0:1], v[56:57], v[92:93]
	v_fmac_f64_e32 v[0:1], v[54:55], v[90:91]
	v_mul_f64 v[2:3], v[54:55], v[92:93]
	buffer_store_dword v90, off, s[40:43], 0 offset:244 ; 4-byte Folded Spill
	s_nop 0
	buffer_store_dword v91, off, s[40:43], 0 offset:248 ; 4-byte Folded Spill
	buffer_store_dword v92, off, s[40:43], 0 offset:252 ; 4-byte Folded Spill
	buffer_store_dword v93, off, s[40:43], 0 offset:256 ; 4-byte Folded Spill
	v_fma_f64 v[2:3], v[56:57], v[90:91], -v[2:3]
	ds_write_b128 v120, v[0:3] offset:6048
	s_waitcnt vmcnt(48)
	v_mul_f64 v[0:1], v[60:61], v[88:89]
	v_fmac_f64_e32 v[0:1], v[58:59], v[86:87]
	v_mul_f64 v[2:3], v[58:59], v[88:89]
	buffer_store_dword v86, off, s[40:43], 0 offset:212 ; 4-byte Folded Spill
	s_nop 0
	buffer_store_dword v87, off, s[40:43], 0 offset:216 ; 4-byte Folded Spill
	buffer_store_dword v88, off, s[40:43], 0 offset:220 ; 4-byte Folded Spill
	buffer_store_dword v89, off, s[40:43], 0 offset:224 ; 4-byte Folded Spill
	v_fma_f64 v[2:3], v[60:61], v[86:87], -v[2:3]
	ds_write_b128 v120, v[0:3] offset:14448
	s_waitcnt vmcnt(50)
	v_mul_f64 v[0:1], v[64:65], v[84:85]
	v_fmac_f64_e32 v[0:1], v[62:63], v[82:83]
	v_mul_f64 v[2:3], v[62:63], v[84:85]
	buffer_store_dword v82, off, s[40:43], 0 offset:164 ; 4-byte Folded Spill
	s_nop 0
	buffer_store_dword v83, off, s[40:43], 0 offset:168 ; 4-byte Folded Spill
	buffer_store_dword v84, off, s[40:43], 0 offset:172 ; 4-byte Folded Spill
	buffer_store_dword v85, off, s[40:43], 0 offset:176 ; 4-byte Folded Spill
	v_fma_f64 v[2:3], v[64:65], v[82:83], -v[2:3]
	ds_write_b128 v120, v[0:3] offset:22848
	s_waitcnt vmcnt(52)
	v_mul_f64 v[0:1], v[68:69], v[108:109]
	v_fmac_f64_e32 v[0:1], v[66:67], v[106:107]
	v_mul_f64 v[2:3], v[66:67], v[108:109]
	buffer_store_dword v106, off, s[40:43], 0 offset:132 ; 4-byte Folded Spill
	s_nop 0
	buffer_store_dword v107, off, s[40:43], 0 offset:136 ; 4-byte Folded Spill
	buffer_store_dword v108, off, s[40:43], 0 offset:140 ; 4-byte Folded Spill
	buffer_store_dword v109, off, s[40:43], 0 offset:144 ; 4-byte Folded Spill
	v_fma_f64 v[2:3], v[68:69], v[106:107], -v[2:3]
	ds_write_b128 v120, v[0:3] offset:7056
	s_waitcnt vmcnt(54)
	v_mul_f64 v[0:1], v[72:73], v[116:117]
	v_fmac_f64_e32 v[0:1], v[70:71], v[114:115]
	v_mul_f64 v[2:3], v[70:71], v[116:117]
	buffer_store_dword v114, off, s[40:43], 0 offset:116 ; 4-byte Folded Spill
	s_nop 0
	buffer_store_dword v115, off, s[40:43], 0 offset:120 ; 4-byte Folded Spill
	buffer_store_dword v116, off, s[40:43], 0 offset:124 ; 4-byte Folded Spill
	buffer_store_dword v117, off, s[40:43], 0 offset:128 ; 4-byte Folded Spill
	v_fma_f64 v[2:3], v[72:73], v[114:115], -v[2:3]
	ds_write_b128 v120, v[0:3] offset:15456
	s_waitcnt vmcnt(56)
	v_mul_f64 v[0:1], v[76:77], v[128:129]
	v_fmac_f64_e32 v[0:1], v[74:75], v[126:127]
	v_mul_f64 v[2:3], v[74:75], v[128:129]
	buffer_store_dword v126, off, s[40:43], 0 offset:84 ; 4-byte Folded Spill
	s_nop 0
	buffer_store_dword v127, off, s[40:43], 0 offset:88 ; 4-byte Folded Spill
	buffer_store_dword v128, off, s[40:43], 0 offset:92 ; 4-byte Folded Spill
	;; [unrolled: 1-line block ×3, first 2 shown]
	v_fma_f64 v[2:3], v[76:77], v[126:127], -v[2:3]
	ds_write_b128 v120, v[0:3] offset:23856
	s_and_saveexec_b64 s[2:3], s[0:1]
	s_cbranch_execz .LBB0_3
; %bb.2:
	buffer_load_dword v22, off, s[40:43], 0 offset:160 ; 4-byte Folded Reload
	v_mov_b32_e32 v0, s19
	v_add_co_u32_e32 v8, vcc, s18, v44
	v_addc_co_u32_e32 v9, vcc, v45, v0, vcc
	v_accvgpr_read_b32 v19, a0
	v_add_co_u32_e32 v4, vcc, 0x1000, v19
	v_mov_b32_e32 v18, s15
	global_load_dwordx4 v[0:3], v[8:9], off
	s_waitcnt vmcnt(1)
	v_addc_co_u32_e32 v5, vcc, 0, v22, vcc
	v_add_co_u32_e32 v16, vcc, s14, v8
	v_addc_co_u32_e32 v17, vcc, v9, v18, vcc
	v_add_co_u32_e32 v20, vcc, s14, v16
	v_addc_co_u32_e32 v21, vcc, v17, v18, vcc
	s_movk_i32 s14, 0x6000
	global_load_dwordx4 v[4:7], v[4:5], off offset:3968
	s_nop 0
	global_load_dwordx4 v[8:11], v[16:17], off
	global_load_dwordx4 v[12:15], v[40:41], off offset:80
	v_add_co_u32_e32 v16, vcc, s14, v19
	v_addc_co_u32_e32 v17, vcc, 0, v22, vcc
	global_load_dwordx4 v[16:19], v[16:17], off offset:288
	s_nop 0
	global_load_dwordx4 v[20:23], v[20:21], off
	s_waitcnt vmcnt(4)
	v_mul_f64 v[24:25], v[2:3], v[6:7]
	v_mul_f64 v[6:7], v[0:1], v[6:7]
	v_fmac_f64_e32 v[24:25], v[0:1], v[4:5]
	v_fma_f64 v[26:27], v[2:3], v[4:5], -v[6:7]
	s_waitcnt vmcnt(2)
	v_mul_f64 v[0:1], v[10:11], v[14:15]
	v_mul_f64 v[2:3], v[8:9], v[14:15]
	s_waitcnt vmcnt(0)
	v_mul_f64 v[4:5], v[22:23], v[18:19]
	v_mul_f64 v[6:7], v[20:21], v[18:19]
	v_fmac_f64_e32 v[0:1], v[8:9], v[12:13]
	v_fma_f64 v[2:3], v[10:11], v[12:13], -v[2:3]
	v_fmac_f64_e32 v[4:5], v[20:21], v[16:17]
	v_fma_f64 v[6:7], v[22:23], v[16:17], -v[6:7]
	ds_write_b128 v120, v[24:27] offset:8064
	ds_write_b128 v120, v[0:3] offset:16464
	;; [unrolled: 1-line block ×3, first 2 shown]
.LBB0_3:
	s_or_b64 exec, exec, s[2:3]
	s_waitcnt lgkmcnt(0)
	; wave barrier
	s_waitcnt lgkmcnt(0)
	ds_read_b128 v[36:39], v120
	ds_read_b128 v[32:35], v120 offset:1008
	ds_read_b128 v[102:105], v120 offset:8400
	;; [unrolled: 1-line block ×23, first 2 shown]
                                        ; implicit-def: $vgpr0_vgpr1
                                        ; implicit-def: $vgpr42_vgpr43
                                        ; implicit-def: $vgpr50_vgpr51
	s_and_saveexec_b64 s[2:3], s[0:1]
	s_cbranch_execz .LBB0_5
; %bb.4:
	ds_read_b128 v[0:3], v120 offset:8064
	ds_read_b128 v[42:45], v120 offset:16464
	;; [unrolled: 1-line block ×3, first 2 shown]
.LBB0_5:
	s_or_b64 exec, exec, s[2:3]
	s_movk_i32 s2, 0x7e
	v_add_co_u32_e32 v230, vcc, s2, v176
	s_movk_i32 s2, 0xbd
	v_add_co_u32_e32 v229, vcc, s2, v176
	;; [unrolled: 2-line block ×6, first 2 shown]
	s_movk_i32 s2, 0x1f8
	s_waitcnt lgkmcnt(14)
	v_add_f64 v[40:41], v[36:37], v[102:103]
	v_add_co_u32_e32 v119, vcc, s2, v176
	v_add_f64 v[110:111], v[40:41], v[106:107]
	v_add_f64 v[40:41], v[102:103], v[106:107]
	s_mov_b32 s2, 0xe8584caa
	v_fmac_f64_e32 v[36:37], -0.5, v[40:41]
	v_add_f64 v[40:41], v[104:105], -v[108:109]
	s_mov_b32 s3, 0x3febb67a
	s_mov_b32 s15, 0xbfebb67a
	;; [unrolled: 1-line block ×3, first 2 shown]
	v_fma_f64 v[114:115], s[2:3], v[40:41], v[36:37]
	v_fmac_f64_e32 v[36:37], s[14:15], v[40:41]
	v_add_f64 v[40:41], v[38:39], v[104:105]
	v_add_f64 v[112:113], v[40:41], v[108:109]
	v_add_f64 v[40:41], v[104:105], v[108:109]
	v_fmac_f64_e32 v[38:39], -0.5, v[40:41]
	v_add_f64 v[40:41], v[102:103], -v[106:107]
	v_fma_f64 v[116:117], s[14:15], v[40:41], v[38:39]
	v_fmac_f64_e32 v[38:39], s[2:3], v[40:41]
	v_add_f64 v[40:41], v[32:33], v[94:95]
	v_add_f64 v[102:103], v[40:41], v[98:99]
	v_add_f64 v[40:41], v[94:95], v[98:99]
	v_fmac_f64_e32 v[32:33], -0.5, v[40:41]
	v_add_f64 v[40:41], v[96:97], -v[100:101]
	;; [unrolled: 7-line block ×3, first 2 shown]
	v_fma_f64 v[108:109], s[14:15], v[40:41], v[34:35]
	v_fmac_f64_e32 v[34:35], s[2:3], v[40:41]
	v_add_f64 v[40:41], v[28:29], v[86:87]
	s_waitcnt lgkmcnt(13)
	v_add_f64 v[94:95], v[40:41], v[90:91]
	v_add_f64 v[40:41], v[86:87], v[90:91]
	v_fmac_f64_e32 v[28:29], -0.5, v[40:41]
	v_add_f64 v[40:41], v[88:89], -v[92:93]
	v_fma_f64 v[98:99], s[2:3], v[40:41], v[28:29]
	v_fmac_f64_e32 v[28:29], s[14:15], v[40:41]
	v_add_f64 v[40:41], v[30:31], v[88:89]
	v_add_f64 v[96:97], v[40:41], v[92:93]
	;; [unrolled: 1-line block ×3, first 2 shown]
	v_fmac_f64_e32 v[30:31], -0.5, v[40:41]
	v_add_f64 v[40:41], v[86:87], -v[90:91]
	v_fma_f64 v[100:101], s[14:15], v[40:41], v[30:31]
	v_fmac_f64_e32 v[30:31], s[2:3], v[40:41]
	v_add_f64 v[40:41], v[24:25], v[78:79]
	s_waitcnt lgkmcnt(12)
	v_add_f64 v[86:87], v[40:41], v[82:83]
	v_add_f64 v[40:41], v[78:79], v[82:83]
	v_fmac_f64_e32 v[24:25], -0.5, v[40:41]
	v_add_f64 v[40:41], v[80:81], -v[84:85]
	v_fma_f64 v[90:91], s[2:3], v[40:41], v[24:25]
	v_fmac_f64_e32 v[24:25], s[14:15], v[40:41]
	v_add_f64 v[40:41], v[26:27], v[80:81]
	v_add_f64 v[88:89], v[40:41], v[84:85]
	;; [unrolled: 1-line block ×3, first 2 shown]
	v_fmac_f64_e32 v[26:27], -0.5, v[40:41]
	v_add_f64 v[40:41], v[78:79], -v[82:83]
	v_fma_f64 v[92:93], s[14:15], v[40:41], v[26:27]
	v_fmac_f64_e32 v[26:27], s[2:3], v[40:41]
	s_waitcnt lgkmcnt(9)
	v_add_f64 v[40:41], v[20:21], v[70:71]
	s_waitcnt lgkmcnt(7)
	v_add_f64 v[78:79], v[40:41], v[74:75]
	v_add_f64 v[40:41], v[70:71], v[74:75]
	v_fmac_f64_e32 v[20:21], -0.5, v[40:41]
	v_add_f64 v[40:41], v[72:73], -v[76:77]
	v_fma_f64 v[82:83], s[2:3], v[40:41], v[20:21]
	v_fmac_f64_e32 v[20:21], s[14:15], v[40:41]
	v_add_f64 v[40:41], v[22:23], v[72:73]
	v_add_f64 v[80:81], v[40:41], v[76:77]
	;; [unrolled: 1-line block ×3, first 2 shown]
	v_fmac_f64_e32 v[22:23], -0.5, v[40:41]
	v_add_f64 v[40:41], v[70:71], -v[74:75]
	v_fma_f64 v[84:85], s[14:15], v[40:41], v[22:23]
	v_fmac_f64_e32 v[22:23], s[2:3], v[40:41]
	v_add_f64 v[40:41], v[16:17], v[62:63]
	s_waitcnt lgkmcnt(6)
	v_add_f64 v[70:71], v[40:41], v[66:67]
	v_add_f64 v[40:41], v[62:63], v[66:67]
	v_fmac_f64_e32 v[16:17], -0.5, v[40:41]
	v_add_f64 v[40:41], v[64:65], -v[68:69]
	v_fma_f64 v[74:75], s[2:3], v[40:41], v[16:17]
	v_fmac_f64_e32 v[16:17], s[14:15], v[40:41]
	v_add_f64 v[40:41], v[18:19], v[64:65]
	v_add_f64 v[72:73], v[40:41], v[68:69]
	;; [unrolled: 1-line block ×3, first 2 shown]
	v_fmac_f64_e32 v[18:19], -0.5, v[40:41]
	v_add_f64 v[40:41], v[62:63], -v[66:67]
	v_fma_f64 v[76:77], s[14:15], v[40:41], v[18:19]
	v_fmac_f64_e32 v[18:19], s[2:3], v[40:41]
	s_waitcnt lgkmcnt(3)
	v_add_f64 v[40:41], v[12:13], v[54:55]
	s_waitcnt lgkmcnt(1)
	v_add_f64 v[62:63], v[40:41], v[58:59]
	v_add_f64 v[40:41], v[54:55], v[58:59]
	v_fmac_f64_e32 v[12:13], -0.5, v[40:41]
	v_add_f64 v[40:41], v[56:57], -v[60:61]
	v_fma_f64 v[66:67], s[2:3], v[40:41], v[12:13]
	v_fmac_f64_e32 v[12:13], s[14:15], v[40:41]
	v_add_f64 v[40:41], v[14:15], v[56:57]
	v_add_f64 v[64:65], v[40:41], v[60:61]
	;; [unrolled: 1-line block ×3, first 2 shown]
	v_fmac_f64_e32 v[14:15], -0.5, v[40:41]
	v_add_f64 v[40:41], v[54:55], -v[58:59]
	v_fma_f64 v[68:69], s[14:15], v[40:41], v[14:15]
	v_fmac_f64_e32 v[14:15], s[2:3], v[40:41]
	v_add_f64 v[40:41], v[8:9], v[4:5]
	s_waitcnt lgkmcnt(0)
	v_add_f64 v[54:55], v[40:41], v[46:47]
	v_add_f64 v[40:41], v[4:5], v[46:47]
	v_fmac_f64_e32 v[8:9], -0.5, v[40:41]
	v_add_f64 v[40:41], v[6:7], -v[48:49]
	v_fma_f64 v[58:59], s[2:3], v[40:41], v[8:9]
	v_fmac_f64_e32 v[8:9], s[14:15], v[40:41]
	v_add_f64 v[40:41], v[10:11], v[6:7]
	v_add_f64 v[6:7], v[6:7], v[48:49]
	v_fmac_f64_e32 v[10:11], -0.5, v[6:7]
	v_add_f64 v[4:5], v[4:5], -v[46:47]
	v_add_f64 v[6:7], v[42:43], v[50:51]
	v_fma_f64 v[60:61], s[14:15], v[4:5], v[10:11]
	v_fmac_f64_e32 v[10:11], s[2:3], v[4:5]
	v_add_f64 v[4:5], v[0:1], v[42:43]
	v_fmac_f64_e32 v[0:1], -0.5, v[6:7]
	v_add_f64 v[6:7], v[44:45], -v[52:53]
	v_add_f64 v[56:57], v[40:41], v[48:49]
	v_fma_f64 v[40:41], s[2:3], v[6:7], v[0:1]
	v_fmac_f64_e32 v[0:1], s[14:15], v[6:7]
	v_add_f64 v[6:7], v[2:3], v[44:45]
	v_add_f64 v[44:45], v[44:45], v[52:53]
	v_fmac_f64_e32 v[2:3], -0.5, v[44:45]
	v_add_f64 v[44:45], v[42:43], -v[50:51]
	v_fma_f64 v[42:43], s[14:15], v[44:45], v[2:3]
	v_fmac_f64_e32 v[2:3], s[2:3], v[44:45]
	v_mul_lo_u16_e32 v44, 3, v176
	v_add_co_u32_e32 v232, vcc, 63, v176
	v_lshlrev_b32_e32 v44, 4, v44
	s_waitcnt lgkmcnt(0)
	; wave barrier
	ds_write_b128 v44, v[110:113]
	ds_write_b128 v44, v[114:117] offset:16
	ds_write_b128 v44, v[36:39] offset:32
	v_mul_u32_u24_e32 v36, 3, v232
	v_lshlrev_b32_e32 v36, 4, v36
	buffer_store_dword v44, off, s[40:43], 0 ; 4-byte Folded Spill
	ds_write_b128 v36, v[102:105]
	ds_write_b128 v36, v[106:109] offset:16
	ds_write_b128 v36, v[32:35] offset:32
	v_mul_u32_u24_e32 v32, 3, v230
	v_lshlrev_b32_e32 v32, 4, v32
	buffer_store_dword v36, off, s[40:43], 0 offset:4 ; 4-byte Folded Spill
	ds_write_b128 v32, v[94:97]
	ds_write_b128 v32, v[98:101] offset:16
	ds_write_b128 v32, v[28:31] offset:32
	v_mul_u32_u24_e32 v28, 3, v229
	v_lshlrev_b32_e32 v28, 4, v28
	buffer_store_dword v32, off, s[40:43], 0 offset:8 ; 4-byte Folded Spill
	ds_write_b128 v28, v[86:89]
	ds_write_b128 v28, v[90:93] offset:16
	ds_write_b128 v28, v[24:27] offset:32
	v_mul_u32_u24_e32 v24, 3, v228
	v_lshlrev_b32_e32 v24, 4, v24
	buffer_store_dword v28, off, s[40:43], 0 offset:20 ; 4-byte Folded Spill
	ds_write_b128 v24, v[78:81]
	ds_write_b128 v24, v[82:85] offset:16
	ds_write_b128 v24, v[20:23] offset:32
	v_mul_u32_u24_e32 v20, 3, v122
	v_lshlrev_b32_e32 v20, 4, v20
	s_load_dwordx2 s[4:5], s[4:5], 0x8
	buffer_store_dword v24, off, s[40:43], 0 offset:12 ; 4-byte Folded Spill
	ds_write_b128 v20, v[70:73]
	ds_write_b128 v20, v[74:77] offset:16
	ds_write_b128 v20, v[16:19] offset:32
	v_mul_u32_u24_e32 v16, 3, v124
	v_lshlrev_b32_e32 v16, 4, v16
	buffer_store_dword v20, off, s[40:43], 0 offset:16 ; 4-byte Folded Spill
	ds_write_b128 v16, v[62:65]
	ds_write_b128 v16, v[66:69] offset:16
	ds_write_b128 v16, v[12:15] offset:32
	v_mul_u32_u24_e32 v12, 3, v118
	v_lshlrev_b32_e32 v12, 4, v12
	v_add_f64 v[4:5], v[4:5], v[50:51]
	v_add_f64 v[6:7], v[6:7], v[52:53]
	buffer_store_dword v16, off, s[40:43], 0 offset:24 ; 4-byte Folded Spill
	ds_write_b128 v12, v[54:57]
	ds_write_b128 v12, v[58:61] offset:16
	ds_write_b128 v12, v[8:11] offset:32
	v_mul_u32_u24_e32 v8, 3, v119
	buffer_store_dword v12, off, s[40:43], 0 offset:28 ; 4-byte Folded Spill
	buffer_store_dword v8, off, s[40:43], 0 offset:424 ; 4-byte Folded Spill
	s_and_saveexec_b64 s[2:3], s[0:1]
	s_cbranch_execz .LBB0_7
; %bb.6:
	v_mul_u32_u24_e32 v8, 3, v119
	v_lshlrev_b32_e32 v8, 4, v8
	ds_write_b128 v8, v[4:7]
	ds_write_b128 v8, v[40:43] offset:16
	ds_write_b128 v8, v[0:3] offset:32
.LBB0_7:
	s_or_b64 exec, exec, s[2:3]
	s_waitcnt lgkmcnt(0)
	; wave barrier
	s_waitcnt lgkmcnt(0)
	ds_read_b128 v[36:39], v120
	ds_read_b128 v[32:35], v120 offset:1008
	ds_read_b128 v[104:107], v120 offset:8400
	;; [unrolled: 1-line block ×23, first 2 shown]
	s_and_saveexec_b64 s[2:3], s[0:1]
	s_cbranch_execz .LBB0_9
; %bb.8:
	ds_read_b128 v[4:7], v120 offset:8064
	ds_read_b128 v[40:43], v120 offset:16464
	ds_read_b128 v[0:3], v120 offset:24864
.LBB0_9:
	s_or_b64 exec, exec, s[2:3]
	s_movk_i32 s2, 0xab
	v_mul_lo_u16_sdwa v108, v176, s2 dst_sel:DWORD dst_unused:UNUSED_PAD src0_sel:BYTE_0 src1_sel:DWORD
	v_lshrrev_b16_e32 v116, 9, v108
	v_mul_lo_u16_e32 v108, 3, v116
	v_sub_u16_e32 v108, v176, v108
	v_and_b32_e32 v117, 0xff, v108
	v_lshlrev_b32_e32 v108, 5, v117
	global_load_dwordx4 v[110:113], v108, s[4:5] offset:16
	global_load_dwordx4 v[126:129], v108, s[4:5]
	s_waitcnt vmcnt(1)
	v_accvgpr_write_b32 a110, v110
	s_waitcnt vmcnt(0) lgkmcnt(14)
	v_mul_f64 v[108:109], v[106:107], v[128:129]
	v_fma_f64 v[108:109], v[104:105], v[126:127], -v[108:109]
	v_mul_f64 v[104:105], v[104:105], v[128:129]
	v_fmac_f64_e32 v[104:105], v[106:107], v[126:127]
	v_mul_f64 v[106:107], v[102:103], v[112:113]
	v_fma_f64 v[106:107], v[100:101], v[110:111], -v[106:107]
	v_mul_f64 v[100:101], v[100:101], v[112:113]
	v_fmac_f64_e32 v[100:101], v[102:103], v[110:111]
	v_mul_lo_u16_sdwa v102, v232, s2 dst_sel:DWORD dst_unused:UNUSED_PAD src0_sel:BYTE_0 src1_sel:DWORD
	v_lshrrev_b16_e32 v121, 9, v102
	v_mul_lo_u16_e32 v102, 3, v121
	v_sub_u16_e32 v102, v232, v102
	v_and_b32_e32 v123, 0xff, v102
	v_accvgpr_write_b32 a114, v126
	v_lshlrev_b32_e32 v102, 5, v123
	v_accvgpr_write_b32 a115, v127
	v_accvgpr_write_b32 a116, v128
	;; [unrolled: 1-line block ×6, first 2 shown]
	global_load_dwordx4 v[110:113], v102, s[4:5] offset:16
	global_load_dwordx4 v[126:129], v102, s[4:5]
	s_waitcnt vmcnt(1)
	v_accvgpr_write_b32 a121, v113
	s_waitcnt vmcnt(0)
	v_mul_f64 v[102:103], v[98:99], v[128:129]
	v_fma_f64 v[102:103], v[96:97], v[126:127], -v[102:103]
	v_mul_f64 v[96:97], v[96:97], v[128:129]
	v_fmac_f64_e32 v[96:97], v[98:99], v[126:127]
	v_mul_f64 v[98:99], v[94:95], v[112:113]
	v_fma_f64 v[98:99], v[92:93], v[110:111], -v[98:99]
	v_mul_f64 v[92:93], v[92:93], v[112:113]
	v_fmac_f64_e32 v[92:93], v[94:95], v[110:111]
	v_mul_lo_u16_sdwa v94, v230, s2 dst_sel:DWORD dst_unused:UNUSED_PAD src0_sel:BYTE_0 src1_sel:DWORD
	v_lshrrev_b16_e32 v125, 9, v94
	v_mul_lo_u16_e32 v94, 3, v125
	v_accvgpr_write_b32 a122, v126
	v_sub_u16_e32 v94, v230, v94
	v_accvgpr_write_b32 a123, v127
	v_accvgpr_write_b32 a124, v128
	;; [unrolled: 1-line block ×3, first 2 shown]
	v_and_b32_e32 v126, 0xff, v94
	v_lshlrev_b32_e32 v94, 5, v126
	v_accvgpr_write_b32 a120, v112
	v_accvgpr_write_b32 a119, v111
	;; [unrolled: 1-line block ×3, first 2 shown]
	global_load_dwordx4 v[110:113], v94, s[4:5] offset:16
	global_load_dwordx4 v[128:131], v94, s[4:5]
	s_waitcnt vmcnt(1)
	v_accvgpr_write_b32 a129, v113
	s_waitcnt vmcnt(0)
	v_mul_f64 v[94:95], v[90:91], v[130:131]
	v_fma_f64 v[94:95], v[88:89], v[128:129], -v[94:95]
	v_mul_f64 v[88:89], v[88:89], v[130:131]
	v_fmac_f64_e32 v[88:89], v[90:91], v[128:129]
	s_waitcnt lgkmcnt(13)
	v_mul_f64 v[90:91], v[86:87], v[112:113]
	v_fma_f64 v[90:91], v[84:85], v[110:111], -v[90:91]
	v_mul_f64 v[84:85], v[84:85], v[112:113]
	v_fmac_f64_e32 v[84:85], v[86:87], v[110:111]
	v_mul_lo_u16_sdwa v86, v229, s2 dst_sel:DWORD dst_unused:UNUSED_PAD src0_sel:BYTE_0 src1_sel:DWORD
	v_lshrrev_b16_e32 v127, 9, v86
	v_mul_lo_u16_e32 v86, 3, v127
	v_accvgpr_write_b32 a133, v131
	v_sub_u16_e32 v86, v229, v86
	v_accvgpr_write_b32 a132, v130
	v_accvgpr_write_b32 a131, v129
	;; [unrolled: 1-line block ×3, first 2 shown]
	v_and_b32_e32 v128, 0xff, v86
	v_lshlrev_b32_e32 v86, 5, v128
	v_accvgpr_write_b32 a128, v112
	v_accvgpr_write_b32 a127, v111
	;; [unrolled: 1-line block ×3, first 2 shown]
	global_load_dwordx4 v[110:113], v86, s[4:5] offset:16
	global_load_dwordx4 v[130:133], v86, s[4:5]
	s_mov_b32 s2, 0xaaab
	s_waitcnt vmcnt(1)
	v_accvgpr_write_b32 a137, v113
	s_waitcnt vmcnt(0)
	v_mul_f64 v[86:87], v[82:83], v[132:133]
	v_fma_f64 v[86:87], v[80:81], v[130:131], -v[86:87]
	v_mul_f64 v[80:81], v[80:81], v[132:133]
	v_fmac_f64_e32 v[80:81], v[82:83], v[130:131]
	s_waitcnt lgkmcnt(12)
	v_mul_f64 v[82:83], v[78:79], v[112:113]
	v_fma_f64 v[82:83], v[76:77], v[110:111], -v[82:83]
	v_mul_f64 v[76:77], v[76:77], v[112:113]
	v_fmac_f64_e32 v[76:77], v[78:79], v[110:111]
	v_mul_u32_u24_sdwa v78, v228, s2 dst_sel:DWORD dst_unused:UNUSED_PAD src0_sel:WORD_0 src1_sel:DWORD
	v_lshrrev_b32_e32 v129, 17, v78
	v_accvgpr_write_b32 a141, v133
	v_mul_lo_u16_e32 v78, 3, v129
	v_accvgpr_write_b32 a140, v132
	v_accvgpr_write_b32 a139, v131
	;; [unrolled: 1-line block ×3, first 2 shown]
	v_sub_u16_e32 v130, v228, v78
	v_lshlrev_b16_e32 v78, 1, v130
	v_lshlrev_b32_e32 v78, 4, v78
	v_accvgpr_write_b32 a136, v112
	v_accvgpr_write_b32 a135, v111
	;; [unrolled: 1-line block ×3, first 2 shown]
	global_load_dwordx4 v[110:113], v78, s[4:5] offset:16
	global_load_dwordx4 v[132:135], v78, s[4:5]
	s_waitcnt vmcnt(1)
	v_accvgpr_write_b32 a145, v113
	s_waitcnt vmcnt(0) lgkmcnt(9)
	v_mul_f64 v[78:79], v[74:75], v[134:135]
	v_fma_f64 v[78:79], v[72:73], v[132:133], -v[78:79]
	v_mul_f64 v[72:73], v[72:73], v[134:135]
	v_fmac_f64_e32 v[72:73], v[74:75], v[132:133]
	s_waitcnt lgkmcnt(7)
	v_mul_f64 v[74:75], v[70:71], v[112:113]
	v_fma_f64 v[74:75], v[68:69], v[110:111], -v[74:75]
	v_mul_f64 v[68:69], v[68:69], v[112:113]
	v_fmac_f64_e32 v[68:69], v[70:71], v[110:111]
	v_mul_u32_u24_sdwa v70, v122, s2 dst_sel:DWORD dst_unused:UNUSED_PAD src0_sel:WORD_0 src1_sel:DWORD
	v_lshrrev_b32_e32 v131, 17, v70
	v_mul_lo_u16_e32 v70, 3, v131
	v_sub_u16_e32 v122, v122, v70
	v_lshlrev_b16_e32 v70, 1, v122
	v_accvgpr_write_b32 a149, v135
	v_lshlrev_b32_e32 v70, 4, v70
	v_accvgpr_write_b32 a148, v134
	v_accvgpr_write_b32 a147, v133
	;; [unrolled: 1-line block ×6, first 2 shown]
	global_load_dwordx4 v[110:113], v70, s[4:5] offset:16
	global_load_dwordx4 v[132:135], v70, s[4:5]
	s_waitcnt vmcnt(1)
	v_accvgpr_write_b32 a153, v113
	s_waitcnt vmcnt(0)
	v_mul_f64 v[70:71], v[66:67], v[134:135]
	v_fma_f64 v[70:71], v[64:65], v[132:133], -v[70:71]
	v_mul_f64 v[64:65], v[64:65], v[134:135]
	v_fmac_f64_e32 v[64:65], v[66:67], v[132:133]
	s_waitcnt lgkmcnt(6)
	v_mul_f64 v[66:67], v[62:63], v[112:113]
	v_fma_f64 v[66:67], v[60:61], v[110:111], -v[66:67]
	v_mul_f64 v[60:61], v[60:61], v[112:113]
	v_accvgpr_write_b32 a157, v135
	v_fmac_f64_e32 v[60:61], v[62:63], v[110:111]
	v_mul_u32_u24_sdwa v62, v124, s2 dst_sel:DWORD dst_unused:UNUSED_PAD src0_sel:WORD_0 src1_sel:DWORD
	v_accvgpr_write_b32 a156, v134
	v_accvgpr_write_b32 a155, v133
	;; [unrolled: 1-line block ×3, first 2 shown]
	v_lshrrev_b32_e32 v132, 17, v62
	v_mul_lo_u16_e32 v62, 3, v132
	v_sub_u16_e32 v124, v124, v62
	v_lshlrev_b16_e32 v62, 1, v124
	v_lshlrev_b32_e32 v62, 4, v62
	v_accvgpr_write_b32 a152, v112
	v_accvgpr_write_b32 a151, v111
	;; [unrolled: 1-line block ×3, first 2 shown]
	global_load_dwordx4 v[110:113], v62, s[4:5] offset:16
	global_load_dwordx4 v[134:137], v62, s[4:5]
	s_waitcnt vmcnt(1)
	v_accvgpr_write_b32 a161, v113
	s_waitcnt vmcnt(0) lgkmcnt(3)
	v_mul_f64 v[62:63], v[58:59], v[136:137]
	v_fma_f64 v[62:63], v[56:57], v[134:135], -v[62:63]
	v_mul_f64 v[56:57], v[56:57], v[136:137]
	v_fmac_f64_e32 v[56:57], v[58:59], v[134:135]
	s_waitcnt lgkmcnt(1)
	v_mul_f64 v[58:59], v[54:55], v[112:113]
	v_fma_f64 v[58:59], v[52:53], v[110:111], -v[58:59]
	v_mul_f64 v[52:53], v[52:53], v[112:113]
	v_fmac_f64_e32 v[52:53], v[54:55], v[110:111]
	v_mul_u32_u24_sdwa v54, v118, s2 dst_sel:DWORD dst_unused:UNUSED_PAD src0_sel:WORD_0 src1_sel:DWORD
	v_lshrrev_b32_e32 v133, 17, v54
	v_mul_lo_u16_e32 v54, 3, v133
	v_sub_u16_e32 v118, v118, v54
	v_lshlrev_b16_e32 v54, 1, v118
	v_accvgpr_write_b32 a165, v137
	v_lshlrev_b32_e32 v54, 4, v54
	v_accvgpr_write_b32 a164, v136
	v_accvgpr_write_b32 a163, v135
	;; [unrolled: 1-line block ×6, first 2 shown]
	global_load_dwordx4 v[110:113], v54, s[4:5] offset:16
	global_load_dwordx4 v[134:137], v54, s[4:5]
	s_waitcnt vmcnt(1)
	v_accvgpr_write_b32 a169, v113
	s_waitcnt vmcnt(0)
	v_mul_f64 v[54:55], v[50:51], v[136:137]
	v_fma_f64 v[54:55], v[48:49], v[134:135], -v[54:55]
	v_mul_f64 v[48:49], v[48:49], v[136:137]
	v_fmac_f64_e32 v[48:49], v[50:51], v[134:135]
	s_waitcnt lgkmcnt(0)
	v_mul_f64 v[50:51], v[46:47], v[112:113]
	v_fma_f64 v[50:51], v[44:45], v[110:111], -v[50:51]
	v_mul_f64 v[44:45], v[44:45], v[112:113]
	v_accvgpr_write_b32 a173, v137
	v_fmac_f64_e32 v[44:45], v[46:47], v[110:111]
	v_mul_u32_u24_sdwa v46, v119, s2 dst_sel:DWORD dst_unused:UNUSED_PAD src0_sel:WORD_0 src1_sel:DWORD
	v_accvgpr_write_b32 a172, v136
	v_accvgpr_write_b32 a171, v135
	v_accvgpr_write_b32 a170, v134
	v_lshrrev_b32_e32 v134, 17, v46
	v_mul_lo_u16_e32 v46, 3, v134
	v_sub_u16_e32 v119, v119, v46
	v_lshlrev_b16_e32 v46, 1, v119
	v_lshlrev_b32_e32 v46, 4, v46
	global_load_dwordx4 v[136:139], v46, s[4:5] offset:16
	global_load_dwordx4 v[140:143], v46, s[4:5]
	v_accvgpr_write_b32 a168, v112
	v_accvgpr_write_b32 a167, v111
	;; [unrolled: 1-line block ×3, first 2 shown]
	s_mov_b32 s2, 0xe8584caa
	s_mov_b32 s3, 0x3febb67a
	;; [unrolled: 1-line block ×3, first 2 shown]
	s_waitcnt lgkmcnt(0)
	; wave barrier
	s_waitcnt vmcnt(1)
	v_mul_f64 v[114:115], v[0:1], v[138:139]
	s_waitcnt vmcnt(0)
	v_mul_f64 v[46:47], v[42:43], v[142:143]
	v_fma_f64 v[46:47], v[40:41], v[140:141], -v[46:47]
	v_mul_f64 v[112:113], v[40:41], v[142:143]
	v_mul_f64 v[40:41], v[2:3], v[138:139]
	v_fmac_f64_e32 v[114:115], v[2:3], v[136:137]
	v_add_f64 v[2:3], v[108:109], v[106:107]
	v_fma_f64 v[110:111], v[0:1], v[136:137], -v[40:41]
	v_add_f64 v[0:1], v[36:37], v[108:109]
	v_fmac_f64_e32 v[36:37], -0.5, v[2:3]
	v_add_f64 v[2:3], v[104:105], -v[100:101]
	v_fmac_f64_e32 v[112:113], v[42:43], v[140:141]
	v_fma_f64 v[40:41], s[2:3], v[2:3], v[36:37]
	v_fmac_f64_e32 v[36:37], s[14:15], v[2:3]
	v_add_f64 v[2:3], v[38:39], v[104:105]
	v_add_f64 v[42:43], v[104:105], v[100:101]
	;; [unrolled: 1-line block ×3, first 2 shown]
	v_fmac_f64_e32 v[38:39], -0.5, v[42:43]
	v_add_f64 v[100:101], v[108:109], -v[106:107]
	v_fma_f64 v[42:43], s[14:15], v[100:101], v[38:39]
	v_fmac_f64_e32 v[38:39], s[2:3], v[100:101]
	v_add_f64 v[100:101], v[32:33], v[102:103]
	v_add_f64 v[104:105], v[100:101], v[98:99]
	v_add_f64 v[100:101], v[102:103], v[98:99]
	v_add_f64 v[0:1], v[0:1], v[106:107]
	v_fmac_f64_e32 v[32:33], -0.5, v[100:101]
	v_add_f64 v[106:107], v[96:97], -v[92:93]
	v_fma_f64 v[100:101], s[2:3], v[106:107], v[32:33]
	v_fmac_f64_e32 v[32:33], s[14:15], v[106:107]
	v_add_f64 v[106:107], v[34:35], v[96:97]
	v_add_f64 v[106:107], v[106:107], v[92:93]
	v_add_f64 v[92:93], v[96:97], v[92:93]
	v_fmac_f64_e32 v[34:35], -0.5, v[92:93]
	v_add_f64 v[92:93], v[102:103], -v[98:99]
	v_fma_f64 v[102:103], s[14:15], v[92:93], v[34:35]
	v_fmac_f64_e32 v[34:35], s[2:3], v[92:93]
	v_add_f64 v[92:93], v[28:29], v[94:95]
	v_add_f64 v[96:97], v[92:93], v[90:91]
	;; [unrolled: 1-line block ×3, first 2 shown]
	v_accvgpr_write_b32 a177, v139
	v_fmac_f64_e32 v[28:29], -0.5, v[92:93]
	v_add_f64 v[92:93], v[88:89], -v[84:85]
	v_accvgpr_write_b32 a176, v138
	v_accvgpr_write_b32 a175, v137
	;; [unrolled: 1-line block ×3, first 2 shown]
	v_fma_f64 v[136:137], s[2:3], v[92:93], v[28:29]
	v_fmac_f64_e32 v[28:29], s[14:15], v[92:93]
	v_add_f64 v[92:93], v[30:31], v[88:89]
	v_add_f64 v[98:99], v[92:93], v[84:85]
	;; [unrolled: 1-line block ×3, first 2 shown]
	v_fmac_f64_e32 v[30:31], -0.5, v[84:85]
	v_add_f64 v[84:85], v[94:95], -v[90:91]
	v_accvgpr_write_b32 a181, v143
	v_fma_f64 v[138:139], s[14:15], v[84:85], v[30:31]
	v_fmac_f64_e32 v[30:31], s[2:3], v[84:85]
	v_add_f64 v[84:85], v[24:25], v[86:87]
	v_accvgpr_write_b32 a180, v142
	v_accvgpr_write_b32 a179, v141
	;; [unrolled: 1-line block ×3, first 2 shown]
	v_add_f64 v[140:141], v[84:85], v[82:83]
	v_add_f64 v[84:85], v[86:87], v[82:83]
	v_fmac_f64_e32 v[24:25], -0.5, v[84:85]
	v_add_f64 v[88:89], v[80:81], -v[76:77]
	v_fma_f64 v[84:85], s[2:3], v[88:89], v[24:25]
	v_fmac_f64_e32 v[24:25], s[14:15], v[88:89]
	v_add_f64 v[88:89], v[26:27], v[80:81]
	v_add_f64 v[142:143], v[88:89], v[76:77]
	v_add_f64 v[76:77], v[80:81], v[76:77]
	v_fmac_f64_e32 v[26:27], -0.5, v[76:77]
	v_add_f64 v[76:77], v[86:87], -v[82:83]
	v_fma_f64 v[86:87], s[14:15], v[76:77], v[26:27]
	v_fmac_f64_e32 v[26:27], s[2:3], v[76:77]
	v_add_f64 v[76:77], v[20:21], v[78:79]
	;; [unrolled: 7-line block ×10, first 2 shown]
	v_fma_f64 v[88:89], -0.5, v[44:45], v[4:5]
	v_add_f64 v[44:45], v[112:113], -v[114:115]
	v_fma_f64 v[92:93], s[2:3], v[44:45], v[88:89]
	v_fmac_f64_e32 v[88:89], s[14:15], v[44:45]
	v_add_f64 v[44:45], v[112:113], v[114:115]
	v_fma_f64 v[90:91], -0.5, v[44:45], v[6:7]
	v_add_f64 v[44:45], v[46:47], -v[110:111]
	v_fma_f64 v[94:95], s[14:15], v[44:45], v[90:91]
	v_fmac_f64_e32 v[90:91], s[2:3], v[44:45]
	v_mul_u32_u24_e32 v44, 9, v116
	v_add_lshl_u32 v44, v44, v117, 4
	ds_write_b128 v44, v[0:3]
	ds_write_b128 v44, v[40:43] offset:48
	v_mul_u32_u24_e32 v0, 9, v121
	v_add_lshl_u32 v0, v0, v123, 4
	buffer_store_dword v44, off, s[40:43], 0 offset:36 ; 4-byte Folded Spill
	ds_write_b128 v44, v[36:39] offset:96
	ds_write_b128 v0, v[104:107]
	ds_write_b128 v0, v[100:103] offset:48
	buffer_store_dword v0, off, s[40:43], 0 offset:40 ; 4-byte Folded Spill
	ds_write_b128 v0, v[32:35] offset:96
	v_mul_u32_u24_e32 v0, 9, v125
	v_add_lshl_u32 v0, v0, v126, 4
	ds_write_b128 v0, v[96:99]
	ds_write_b128 v0, v[136:139] offset:48
	buffer_store_dword v0, off, s[40:43], 0 offset:44 ; 4-byte Folded Spill
	ds_write_b128 v0, v[28:31] offset:96
	v_mul_u32_u24_e32 v0, 9, v127
	v_add_lshl_u32 v0, v0, v128, 4
	ds_write_b128 v0, v[140:143]
	ds_write_b128 v0, v[84:87] offset:48
	buffer_store_dword v0, off, s[40:43], 0 offset:32 ; 4-byte Folded Spill
	ds_write_b128 v0, v[24:27] offset:96
	v_mad_legacy_u16 v0, v129, 9, v130
	v_lshlrev_b32_e32 v0, 4, v0
	ds_write_b128 v0, v[80:83]
	ds_write_b128 v0, v[76:79] offset:48
	buffer_store_dword v0, off, s[40:43], 0 offset:148 ; 4-byte Folded Spill
	ds_write_b128 v0, v[20:23] offset:96
	v_mad_legacy_u16 v0, v131, 9, v122
	v_lshlrev_b32_e32 v0, 4, v0
	;; [unrolled: 6-line block ×4, first 2 shown]
	ds_write_b128 v0, v[56:59]
	ds_write_b128 v0, v[52:55] offset:48
	buffer_store_dword v0, off, s[40:43], 0 offset:48 ; 4-byte Folded Spill
	ds_write_b128 v0, v[8:11] offset:96
	v_mad_legacy_u16 v0, v134, 9, v119
	v_accvgpr_write_b32 a190, v0
	s_and_saveexec_b64 s[2:3], s[0:1]
	s_cbranch_execz .LBB0_11
; %bb.10:
	v_add_f64 v[0:1], v[6:7], v[112:113]
	v_add_f64 v[2:3], v[0:1], v[114:115]
	;; [unrolled: 1-line block ×3, first 2 shown]
	v_accvgpr_read_b32 v4, a190
	v_add_f64 v[0:1], v[0:1], v[110:111]
	v_lshlrev_b32_e32 v4, 4, v4
	ds_write_b128 v4, v[0:3]
	ds_write_b128 v4, v[92:95] offset:48
	ds_write_b128 v4, v[88:91] offset:96
.LBB0_11:
	s_or_b64 exec, exec, s[2:3]
	v_mov_b32_e32 v24, 57
	v_mul_lo_u16_sdwa v0, v176, v24 dst_sel:DWORD dst_unused:UNUSED_PAD src0_sel:BYTE_0 src1_sel:DWORD
	v_lshrrev_b16_e32 v121, 9, v0
	v_mul_lo_u16_e32 v0, 9, v121
	v_sub_u16_e32 v0, v176, v0
	v_and_b32_e32 v122, 0xff, v0
	v_lshlrev_b32_e32 v0, 6, v122
	s_waitcnt lgkmcnt(0)
	; wave barrier
	s_waitcnt lgkmcnt(0)
	global_load_dwordx4 v[116:119], v0, s[4:5] offset:96
	global_load_dwordx4 v[108:111], v0, s[4:5] offset:112
	;; [unrolled: 1-line block ×4, first 2 shown]
	v_mul_lo_u16_sdwa v0, v232, v24 dst_sel:DWORD dst_unused:UNUSED_PAD src0_sel:BYTE_0 src1_sel:DWORD
	v_lshrrev_b16_e32 v123, 9, v0
	v_mul_lo_u16_e32 v0, 9, v123
	v_sub_u16_e32 v0, v232, v0
	v_and_b32_e32 v124, 0xff, v0
	v_mul_lo_u16_sdwa v9, v230, v24 dst_sel:DWORD dst_unused:UNUSED_PAD src0_sel:BYTE_0 src1_sel:DWORD
	v_mul_lo_u16_sdwa v24, v229, v24 dst_sel:DWORD dst_unused:UNUSED_PAD src0_sel:BYTE_0 src1_sel:DWORD
	v_lshlrev_b32_e32 v8, 6, v124
	v_lshrrev_b16_e32 v125, 9, v9
	v_lshrrev_b16_e32 v127, 9, v24
	global_load_dwordx4 v[178:181], v8, s[4:5] offset:96
	global_load_dwordx4 v[164:167], v8, s[4:5] offset:112
	ds_read_b128 v[20:23], v120
	ds_read_b128 v[16:19], v120 offset:1008
	ds_read_b128 v[4:7], v120 offset:10080
	;; [unrolled: 1-line block ×3, first 2 shown]
	global_load_dwordx4 v[160:163], v8, s[4:5] offset:144
	global_load_dwordx4 v[172:175], v8, s[4:5] offset:128
	v_mul_lo_u16_e32 v8, 9, v125
	v_mul_lo_u16_e32 v24, 9, v127
	s_mov_b32 s2, 0xe38f
	v_sub_u16_e32 v8, v230, v8
	v_sub_u16_e32 v24, v229, v24
	v_mul_u32_u24_sdwa v50, v228, s2 dst_sel:DWORD dst_unused:UNUSED_PAD src0_sel:WORD_0 src1_sel:DWORD
	v_and_b32_e32 v126, 0xff, v8
	v_and_b32_e32 v128, 0xff, v24
	v_lshrrev_b32_e32 v129, 19, v50
	v_lshlrev_b32_e32 v25, 6, v126
	v_lshlrev_b32_e32 v48, 6, v128
	v_mul_lo_u16_e32 v50, 9, v129
	global_load_dwordx4 v[156:159], v25, s[4:5] offset:112
	global_load_dwordx4 v[168:171], v25, s[4:5] offset:96
	ds_read_b128 v[8:11], v120 offset:20160
	ds_read_b128 v[12:15], v120 offset:21168
	;; [unrolled: 1-line block ×6, first 2 shown]
	global_load_dwordx4 v[186:189], v25, s[4:5] offset:144
	global_load_dwordx4 v[194:197], v25, s[4:5] offset:128
	;; [unrolled: 1-line block ×4, first 2 shown]
	v_sub_u16_e32 v130, v228, v50
	ds_read_b128 v[28:31], v120 offset:2016
	ds_read_b128 v[24:27], v120 offset:3024
	global_load_dwordx4 v[202:205], v48, s[4:5] offset:144
	global_load_dwordx4 v[210:213], v48, s[4:5] offset:128
	v_lshlrev_b16_e32 v48, 6, v130
	v_mov_b32_e32 v49, s5
	v_add_co_u32_e32 v60, vcc, s4, v48
	v_addc_co_u32_e32 v61, vcc, 0, v49, vcc
	global_load_dwordx4 v[198:201], v[60:61], off offset:112
	global_load_dwordx4 v[206:209], v[60:61], off offset:96
	ds_read_b128 v[48:51], v120 offset:12096
	ds_read_b128 v[52:55], v120 offset:13104
	;; [unrolled: 1-line block ×6, first 2 shown]
	global_load_dwordx4 v[214:217], v[60:61], off offset:144
	global_load_dwordx4 v[218:221], v[60:61], off offset:128
	ds_read_b128 v[100:103], v120 offset:8064
	ds_read_b128 v[104:107], v120 offset:9072
	;; [unrolled: 1-line block ×7, first 2 shown]
	s_mov_b32 s14, 0x134454ff
	s_mov_b32 s15, 0x3fee6f0e
	;; [unrolled: 1-line block ×10, first 2 shown]
	s_waitcnt lgkmcnt(0)
	; wave barrier
	s_waitcnt lgkmcnt(0)
	v_accvgpr_write_b32 a2, v176
	s_waitcnt vmcnt(19)
	v_mul_f64 v[64:65], v[58:59], v[118:119]
	s_waitcnt vmcnt(18)
	v_mul_f64 v[66:67], v[6:7], v[110:111]
	v_fma_f64 v[144:145], v[4:5], v[108:109], -v[66:67]
	v_mul_f64 v[146:147], v[4:5], v[110:111]
	s_waitcnt vmcnt(17)
	v_mul_f64 v[4:5], v[62:63], v[76:77]
	v_fma_f64 v[148:149], v[60:61], v[74:75], -v[4:5]
	s_waitcnt vmcnt(16)
	v_mul_f64 v[4:5], v[10:11], v[72:73]
	v_mul_f64 v[68:69], v[56:57], v[118:119]
	v_fma_f64 v[150:151], v[8:9], v[70:71], -v[4:5]
	v_fma_f64 v[56:57], v[56:57], v[116:117], -v[64:65]
	v_fmac_f64_e32 v[68:69], v[58:59], v[116:117]
	v_fmac_f64_e32 v[146:147], v[6:7], v[108:109]
	v_mul_f64 v[60:61], v[60:61], v[76:77]
	s_waitcnt vmcnt(15)
	v_mul_f64 v[4:5], v[34:35], v[180:181]
	v_accvgpr_write_b32 a199, v77
	v_fma_f64 v[58:59], v[32:33], v[178:179], -v[4:5]
	v_mul_f64 v[4:5], v[32:33], v[180:181]
	s_waitcnt vmcnt(14)
	v_mul_f64 v[6:7], v[2:3], v[166:167]
	s_waitcnt vmcnt(13)
	v_mul_f64 v[64:65], v[12:13], v[162:163]
	v_accvgpr_write_b32 a198, v76
	v_accvgpr_write_b32 a197, v75
	;; [unrolled: 1-line block ×3, first 2 shown]
	v_fmac_f64_e32 v[60:61], v[62:63], v[74:75]
	v_mul_f64 v[152:153], v[8:9], v[72:73]
	v_accvgpr_write_b32 a195, v73
	v_fma_f64 v[62:63], v[0:1], v[164:165], -v[6:7]
	v_mul_f64 v[6:7], v[14:15], v[162:163]
	v_fmac_f64_e32 v[64:65], v[14:15], v[160:161]
	v_accvgpr_write_b32 a207, v119
	v_accvgpr_write_b32 a194, v72
	s_waitcnt vmcnt(9)
	v_mul_f64 v[14:15], v[80:81], v[188:189]
	v_accvgpr_write_b32 a193, v71
	s_waitcnt vmcnt(6)
	v_mul_f64 v[32:33], v[102:103], v[192:193]
	v_fma_f64 v[74:75], v[100:101], v[190:191], -v[32:33]
	v_mul_f64 v[32:33], v[54:55], v[184:185]
	v_accvgpr_write_b32 a192, v70
	v_fmac_f64_e32 v[152:153], v[10:11], v[70:71]
	v_fma_f64 v[70:71], v[78:79], v[186:187], -v[14:15]
	v_mul_f64 v[14:15], v[78:79], v[188:189]
	v_fma_f64 v[78:79], v[52:53], v[182:183], -v[32:33]
	s_waitcnt vmcnt(4)
	v_mul_f64 v[32:33], v[114:115], v[212:213]
	v_accvgpr_write_b32 a206, v118
	v_accvgpr_write_b32 a205, v117
	;; [unrolled: 1-line block ×3, first 2 shown]
	v_fma_f64 v[116:117], v[112:113], v[210:211], -v[32:33]
	v_mul_f64 v[32:33], v[84:85], v[204:205]
	v_mul_f64 v[100:101], v[100:101], v[192:193]
	v_fma_f64 v[118:119], v[82:83], v[202:203], -v[32:33]
	s_waitcnt vmcnt(2)
	v_mul_f64 v[32:33], v[106:107], v[208:209]
	v_fmac_f64_e32 v[100:101], v[102:103], v[190:191]
	v_fma_f64 v[102:103], v[104:105], v[206:207], -v[32:33]
	v_mul_f64 v[32:33], v[134:135], v[200:201]
	v_fmac_f64_e32 v[14:15], v[80:81], v[186:187]
	v_mul_f64 v[80:81], v[104:105], v[208:209]
	v_fma_f64 v[104:105], v[132:133], v[198:199], -v[32:33]
	s_waitcnt vmcnt(0)
	v_mul_f64 v[32:33], v[138:139], v[220:221]
	v_accvgpr_write_b32 a203, v111
	v_fmac_f64_e32 v[80:81], v[106:107], v[206:207]
	v_fma_f64 v[106:107], v[136:137], v[218:219], -v[32:33]
	v_mul_f64 v[32:33], v[142:143], v[216:217]
	v_accvgpr_write_b32 a202, v110
	v_accvgpr_write_b32 a201, v109
	;; [unrolled: 1-line block ×3, first 2 shown]
	v_fma_f64 v[108:109], v[140:141], v[214:215], -v[32:33]
	v_add_f64 v[32:33], v[20:21], v[56:57]
	v_add_f64 v[32:33], v[32:33], v[144:145]
	v_mul_f64 v[0:1], v[0:1], v[166:167]
	v_fma_f64 v[154:155], v[12:13], v[160:161], -v[6:7]
	v_mul_f64 v[6:7], v[38:39], v[170:171]
	v_add_f64 v[32:33], v[32:33], v[148:149]
	v_fmac_f64_e32 v[0:1], v[2:3], v[164:165]
	v_mul_f64 v[2:3], v[42:43], v[174:175]
	v_fma_f64 v[6:7], v[36:37], v[168:169], -v[6:7]
	v_mul_f64 v[8:9], v[36:37], v[170:171]
	v_add_f64 v[36:37], v[32:33], v[150:151]
	v_add_f64 v[32:33], v[144:145], v[148:149]
	v_fmac_f64_e32 v[4:5], v[34:35], v[178:179]
	v_fma_f64 v[66:67], v[40:41], v[172:173], -v[2:3]
	v_mul_f64 v[2:3], v[40:41], v[174:175]
	v_mul_f64 v[12:13], v[46:47], v[196:197]
	v_fma_f64 v[32:33], -0.5, v[32:33], v[20:21]
	v_add_f64 v[34:35], v[68:69], -v[152:153]
	v_fmac_f64_e32 v[2:3], v[42:43], v[172:173]
	v_fmac_f64_e32 v[8:9], v[38:39], v[168:169]
	v_fma_f64 v[76:77], v[44:45], v[194:195], -v[12:13]
	v_mul_f64 v[12:13], v[44:45], v[196:197]
	v_fma_f64 v[40:41], s[14:15], v[34:35], v[32:33]
	v_add_f64 v[38:39], v[146:147], -v[60:61]
	v_add_f64 v[42:43], v[56:57], -v[144:145]
	;; [unrolled: 1-line block ×3, first 2 shown]
	v_fmac_f64_e32 v[32:33], s[20:21], v[34:35]
	v_fmac_f64_e32 v[40:41], s[2:3], v[38:39]
	v_add_f64 v[42:43], v[42:43], v[44:45]
	v_fmac_f64_e32 v[32:33], s[22:23], v[38:39]
	v_fmac_f64_e32 v[40:41], s[18:19], v[42:43]
	;; [unrolled: 1-line block ×3, first 2 shown]
	v_add_f64 v[42:43], v[56:57], v[150:151]
	v_fmac_f64_e32 v[20:21], -0.5, v[42:43]
	v_fma_f64 v[44:45], s[20:21], v[38:39], v[20:21]
	v_fmac_f64_e32 v[20:21], s[14:15], v[38:39]
	v_fmac_f64_e32 v[44:45], s[2:3], v[34:35]
	;; [unrolled: 1-line block ×3, first 2 shown]
	v_add_f64 v[34:35], v[22:23], v[68:69]
	v_add_f64 v[34:35], v[34:35], v[146:147]
	;; [unrolled: 1-line block ×3, first 2 shown]
	v_mul_f64 v[10:11], v[50:51], v[158:159]
	v_fmac_f64_e32 v[12:13], v[46:47], v[194:195]
	v_add_f64 v[42:43], v[144:145], -v[56:57]
	v_add_f64 v[46:47], v[148:149], -v[150:151]
	v_add_f64 v[38:39], v[34:35], v[152:153]
	v_add_f64 v[34:35], v[146:147], v[60:61]
	v_fma_f64 v[72:73], v[48:49], v[156:157], -v[10:11]
	v_mul_f64 v[10:11], v[48:49], v[158:159]
	v_add_f64 v[42:43], v[42:43], v[46:47]
	v_fma_f64 v[34:35], -0.5, v[34:35], v[22:23]
	v_add_f64 v[48:49], v[56:57], -v[150:151]
	v_fmac_f64_e32 v[10:11], v[50:51], v[156:157]
	v_mul_f64 v[110:111], v[52:53], v[184:185]
	v_fmac_f64_e32 v[44:45], s[18:19], v[42:43]
	v_fmac_f64_e32 v[20:21], s[18:19], v[42:43]
	v_fma_f64 v[42:43], s[20:21], v[48:49], v[34:35]
	v_add_f64 v[50:51], v[144:145], -v[148:149]
	v_add_f64 v[46:47], v[68:69], -v[146:147]
	;; [unrolled: 1-line block ×3, first 2 shown]
	v_fmac_f64_e32 v[34:35], s[14:15], v[48:49]
	v_fmac_f64_e32 v[42:43], s[22:23], v[50:51]
	v_add_f64 v[46:47], v[46:47], v[52:53]
	v_fmac_f64_e32 v[34:35], s[2:3], v[50:51]
	v_fmac_f64_e32 v[42:43], s[18:19], v[46:47]
	;; [unrolled: 1-line block ×3, first 2 shown]
	v_add_f64 v[46:47], v[68:69], v[152:153]
	v_fmac_f64_e32 v[22:23], -0.5, v[46:47]
	v_fma_f64 v[46:47], s[14:15], v[50:51], v[22:23]
	v_fmac_f64_e32 v[22:23], s[20:21], v[50:51]
	v_fmac_f64_e32 v[46:47], s[22:23], v[48:49]
	;; [unrolled: 1-line block ×3, first 2 shown]
	v_add_f64 v[48:49], v[16:17], v[58:59]
	v_fmac_f64_e32 v[110:111], v[54:55], v[182:183]
	v_add_f64 v[52:53], v[146:147], -v[68:69]
	v_add_f64 v[54:55], v[60:61], -v[152:153]
	v_add_f64 v[48:49], v[48:49], v[62:63]
	v_add_f64 v[52:53], v[52:53], v[54:55]
	;; [unrolled: 1-line block ×3, first 2 shown]
	v_fmac_f64_e32 v[46:47], s[18:19], v[52:53]
	v_fmac_f64_e32 v[22:23], s[18:19], v[52:53]
	v_add_f64 v[52:53], v[48:49], v[154:155]
	v_add_f64 v[48:49], v[62:63], v[66:67]
	v_fma_f64 v[48:49], -0.5, v[48:49], v[16:17]
	v_add_f64 v[50:51], v[4:5], -v[64:65]
	v_fma_f64 v[56:57], s[14:15], v[50:51], v[48:49]
	v_add_f64 v[54:55], v[0:1], -v[2:3]
	v_add_f64 v[60:61], v[58:59], -v[62:63]
	;; [unrolled: 1-line block ×3, first 2 shown]
	v_fmac_f64_e32 v[48:49], s[20:21], v[50:51]
	v_fmac_f64_e32 v[56:57], s[2:3], v[54:55]
	v_add_f64 v[60:61], v[60:61], v[68:69]
	v_fmac_f64_e32 v[48:49], s[22:23], v[54:55]
	v_fmac_f64_e32 v[56:57], s[18:19], v[60:61]
	;; [unrolled: 1-line block ×3, first 2 shown]
	v_add_f64 v[60:61], v[58:59], v[154:155]
	v_fmac_f64_e32 v[16:17], -0.5, v[60:61]
	v_fma_f64 v[60:61], s[20:21], v[54:55], v[16:17]
	v_fmac_f64_e32 v[16:17], s[14:15], v[54:55]
	v_fmac_f64_e32 v[60:61], s[2:3], v[50:51]
	;; [unrolled: 1-line block ×3, first 2 shown]
	v_add_f64 v[50:51], v[18:19], v[4:5]
	v_mul_f64 v[112:113], v[112:113], v[212:213]
	v_add_f64 v[50:51], v[50:51], v[0:1]
	v_fmac_f64_e32 v[112:113], v[114:115], v[210:211]
	v_mul_f64 v[114:115], v[82:83], v[204:205]
	v_mul_f64 v[82:83], v[132:133], v[200:201]
	v_add_f64 v[68:69], v[62:63], -v[58:59]
	v_add_f64 v[132:133], v[66:67], -v[154:155]
	v_add_f64 v[50:51], v[50:51], v[2:3]
	v_add_f64 v[68:69], v[68:69], v[132:133]
	v_add_f64 v[54:55], v[50:51], v[64:65]
	v_add_f64 v[50:51], v[0:1], v[2:3]
	v_fmac_f64_e32 v[60:61], s[18:19], v[68:69]
	v_fmac_f64_e32 v[16:17], s[18:19], v[68:69]
	v_fma_f64 v[50:51], -0.5, v[50:51], v[18:19]
	v_add_f64 v[68:69], v[58:59], -v[154:155]
	v_fma_f64 v[58:59], s[20:21], v[68:69], v[50:51]
	v_add_f64 v[66:67], v[62:63], -v[66:67]
	v_add_f64 v[62:63], v[4:5], -v[0:1]
	;; [unrolled: 1-line block ×3, first 2 shown]
	v_fmac_f64_e32 v[50:51], s[14:15], v[68:69]
	v_fmac_f64_e32 v[58:59], s[22:23], v[66:67]
	v_add_f64 v[62:63], v[62:63], v[132:133]
	v_fmac_f64_e32 v[50:51], s[2:3], v[66:67]
	v_fmac_f64_e32 v[58:59], s[18:19], v[62:63]
	;; [unrolled: 1-line block ×3, first 2 shown]
	v_add_f64 v[62:63], v[4:5], v[64:65]
	v_add_f64 v[0:1], v[0:1], -v[4:5]
	v_add_f64 v[2:3], v[2:3], -v[64:65]
	v_fmac_f64_e32 v[18:19], -0.5, v[62:63]
	v_add_f64 v[0:1], v[0:1], v[2:3]
	v_add_f64 v[2:3], v[72:73], v[76:77]
	v_fma_f64 v[62:63], s[14:15], v[66:67], v[18:19]
	v_fmac_f64_e32 v[18:19], s[20:21], v[66:67]
	v_fma_f64 v[64:65], -0.5, v[2:3], v[28:29]
	v_add_f64 v[2:3], v[8:9], -v[14:15]
	v_fmac_f64_e32 v[62:63], s[22:23], v[68:69]
	v_fmac_f64_e32 v[18:19], s[2:3], v[68:69]
	v_fma_f64 v[68:69], s[14:15], v[2:3], v[64:65]
	v_add_f64 v[66:67], v[10:11], -v[12:13]
	v_add_f64 v[4:5], v[6:7], -v[72:73]
	;; [unrolled: 1-line block ×3, first 2 shown]
	v_fmac_f64_e32 v[64:65], s[20:21], v[2:3]
	v_fmac_f64_e32 v[68:69], s[2:3], v[66:67]
	v_add_f64 v[4:5], v[4:5], v[132:133]
	v_fmac_f64_e32 v[64:65], s[22:23], v[66:67]
	v_fmac_f64_e32 v[68:69], s[18:19], v[4:5]
	;; [unrolled: 1-line block ×3, first 2 shown]
	v_add_f64 v[4:5], v[6:7], v[70:71]
	v_fmac_f64_e32 v[62:63], s[18:19], v[0:1]
	v_fmac_f64_e32 v[18:19], s[18:19], v[0:1]
	v_add_f64 v[0:1], v[28:29], v[6:7]
	v_fmac_f64_e32 v[28:29], -0.5, v[4:5]
	v_fmac_f64_e32 v[82:83], v[134:135], v[198:199]
	v_fma_f64 v[4:5], s[20:21], v[66:67], v[28:29]
	v_add_f64 v[132:133], v[72:73], -v[6:7]
	v_add_f64 v[134:135], v[76:77], -v[70:71]
	v_fmac_f64_e32 v[28:29], s[14:15], v[66:67]
	v_add_f64 v[0:1], v[0:1], v[72:73]
	v_fmac_f64_e32 v[4:5], s[2:3], v[2:3]
	v_add_f64 v[132:133], v[132:133], v[134:135]
	;; [unrolled: 2-line block ×3, first 2 shown]
	v_add_f64 v[0:1], v[0:1], v[76:77]
	v_fmac_f64_e32 v[4:5], s[18:19], v[132:133]
	v_fmac_f64_e32 v[28:29], s[18:19], v[132:133]
	v_fma_f64 v[66:67], -0.5, v[66:67], v[30:31]
	v_add_f64 v[132:133], v[6:7], -v[70:71]
	v_add_f64 v[0:1], v[0:1], v[70:71]
	v_fma_f64 v[70:71], s[20:21], v[132:133], v[66:67]
	v_add_f64 v[72:73], v[72:73], -v[76:77]
	v_add_f64 v[6:7], v[8:9], -v[10:11]
	;; [unrolled: 1-line block ×3, first 2 shown]
	v_fmac_f64_e32 v[66:67], s[14:15], v[132:133]
	v_fmac_f64_e32 v[70:71], s[22:23], v[72:73]
	v_add_f64 v[6:7], v[6:7], v[76:77]
	v_fmac_f64_e32 v[66:67], s[2:3], v[72:73]
	v_fmac_f64_e32 v[70:71], s[18:19], v[6:7]
	;; [unrolled: 1-line block ×3, first 2 shown]
	v_add_f64 v[6:7], v[8:9], v[14:15]
	v_add_f64 v[2:3], v[30:31], v[8:9]
	v_fmac_f64_e32 v[30:31], -0.5, v[6:7]
	v_add_f64 v[2:3], v[2:3], v[10:11]
	v_fma_f64 v[6:7], s[14:15], v[72:73], v[30:31]
	v_add_f64 v[8:9], v[10:11], -v[8:9]
	v_add_f64 v[10:11], v[12:13], -v[14:15]
	v_fmac_f64_e32 v[30:31], s[20:21], v[72:73]
	v_fmac_f64_e32 v[6:7], s[22:23], v[132:133]
	v_add_f64 v[8:9], v[8:9], v[10:11]
	v_fmac_f64_e32 v[30:31], s[2:3], v[132:133]
	v_fmac_f64_e32 v[6:7], s[18:19], v[8:9]
	v_fmac_f64_e32 v[30:31], s[18:19], v[8:9]
	v_add_f64 v[8:9], v[24:25], v[74:75]
	v_add_f64 v[8:9], v[8:9], v[78:79]
	;; [unrolled: 1-line block ×3, first 2 shown]
	v_fmac_f64_e32 v[114:115], v[84:85], v[202:203]
	v_add_f64 v[2:3], v[2:3], v[12:13]
	v_add_f64 v[12:13], v[8:9], v[118:119]
	;; [unrolled: 1-line block ×3, first 2 shown]
	v_fma_f64 v[8:9], -0.5, v[8:9], v[24:25]
	v_add_f64 v[10:11], v[100:101], -v[114:115]
	v_add_f64 v[2:3], v[2:3], v[14:15]
	v_fma_f64 v[72:73], s[14:15], v[10:11], v[8:9]
	v_add_f64 v[14:15], v[110:111], -v[112:113]
	v_add_f64 v[76:77], v[74:75], -v[78:79]
	v_add_f64 v[132:133], v[118:119], -v[116:117]
	v_fmac_f64_e32 v[8:9], s[20:21], v[10:11]
	v_fmac_f64_e32 v[72:73], s[2:3], v[14:15]
	v_add_f64 v[76:77], v[76:77], v[132:133]
	v_fmac_f64_e32 v[8:9], s[22:23], v[14:15]
	v_fmac_f64_e32 v[72:73], s[18:19], v[76:77]
	;; [unrolled: 1-line block ×3, first 2 shown]
	v_add_f64 v[76:77], v[74:75], v[118:119]
	v_fmac_f64_e32 v[24:25], -0.5, v[76:77]
	v_fma_f64 v[76:77], s[20:21], v[14:15], v[24:25]
	v_fmac_f64_e32 v[24:25], s[14:15], v[14:15]
	v_fmac_f64_e32 v[76:77], s[2:3], v[10:11]
	;; [unrolled: 1-line block ×3, first 2 shown]
	v_add_f64 v[10:11], v[26:27], v[100:101]
	v_add_f64 v[10:11], v[10:11], v[110:111]
	;; [unrolled: 1-line block ×3, first 2 shown]
	v_add_f64 v[132:133], v[78:79], -v[74:75]
	v_add_f64 v[134:135], v[116:117], -v[118:119]
	v_add_f64 v[14:15], v[10:11], v[114:115]
	v_add_f64 v[10:11], v[110:111], v[112:113]
	;; [unrolled: 1-line block ×3, first 2 shown]
	v_fma_f64 v[10:11], -0.5, v[10:11], v[26:27]
	v_add_f64 v[118:119], v[74:75], -v[118:119]
	v_fmac_f64_e32 v[76:77], s[18:19], v[132:133]
	v_fmac_f64_e32 v[24:25], s[18:19], v[132:133]
	v_fma_f64 v[74:75], s[20:21], v[118:119], v[10:11]
	v_add_f64 v[116:117], v[78:79], -v[116:117]
	v_add_f64 v[78:79], v[100:101], -v[110:111]
	;; [unrolled: 1-line block ×3, first 2 shown]
	v_fmac_f64_e32 v[10:11], s[14:15], v[118:119]
	v_fmac_f64_e32 v[74:75], s[22:23], v[116:117]
	v_add_f64 v[78:79], v[78:79], v[132:133]
	v_fmac_f64_e32 v[10:11], s[2:3], v[116:117]
	v_fmac_f64_e32 v[74:75], s[18:19], v[78:79]
	;; [unrolled: 1-line block ×3, first 2 shown]
	v_add_f64 v[78:79], v[100:101], v[114:115]
	v_fmac_f64_e32 v[26:27], -0.5, v[78:79]
	v_fma_f64 v[78:79], s[14:15], v[116:117], v[26:27]
	v_add_f64 v[100:101], v[110:111], -v[100:101]
	v_add_f64 v[110:111], v[112:113], -v[114:115]
	v_fmac_f64_e32 v[26:27], s[20:21], v[116:117]
	v_fmac_f64_e32 v[78:79], s[22:23], v[118:119]
	v_add_f64 v[100:101], v[100:101], v[110:111]
	v_fmac_f64_e32 v[26:27], s[2:3], v[118:119]
	v_fmac_f64_e32 v[78:79], s[18:19], v[100:101]
	;; [unrolled: 1-line block ×3, first 2 shown]
	v_add_f64 v[100:101], v[96:97], v[102:103]
	v_add_f64 v[100:101], v[100:101], v[104:105]
	v_mul_f64 v[86:87], v[140:141], v[216:217]
	v_add_f64 v[100:101], v[100:101], v[106:107]
	v_mul_f64 v[84:85], v[136:137], v[220:221]
	v_fmac_f64_e32 v[86:87], v[142:143], v[214:215]
	v_add_f64 v[132:133], v[100:101], v[108:109]
	v_add_f64 v[100:101], v[104:105], v[106:107]
	v_fmac_f64_e32 v[84:85], v[138:139], v[218:219]
	v_fma_f64 v[112:113], -0.5, v[100:101], v[96:97]
	v_add_f64 v[110:111], v[80:81], -v[86:87]
	v_fma_f64 v[100:101], s[14:15], v[110:111], v[112:113]
	v_add_f64 v[114:115], v[82:83], -v[84:85]
	v_add_f64 v[116:117], v[102:103], -v[104:105]
	;; [unrolled: 1-line block ×3, first 2 shown]
	v_fmac_f64_e32 v[112:113], s[20:21], v[110:111]
	v_fmac_f64_e32 v[100:101], s[2:3], v[114:115]
	v_add_f64 v[116:117], v[116:117], v[118:119]
	v_fmac_f64_e32 v[112:113], s[22:23], v[114:115]
	v_fmac_f64_e32 v[100:101], s[18:19], v[116:117]
	;; [unrolled: 1-line block ×3, first 2 shown]
	v_add_f64 v[116:117], v[102:103], v[108:109]
	v_fmac_f64_e32 v[96:97], -0.5, v[116:117]
	v_fma_f64 v[116:117], s[20:21], v[114:115], v[96:97]
	v_fmac_f64_e32 v[96:97], s[14:15], v[114:115]
	v_fmac_f64_e32 v[116:117], s[2:3], v[110:111]
	;; [unrolled: 1-line block ×3, first 2 shown]
	v_add_f64 v[110:111], v[98:99], v[80:81]
	v_add_f64 v[110:111], v[110:111], v[82:83]
	v_add_f64 v[118:119], v[104:105], -v[102:103]
	v_add_f64 v[134:135], v[106:107], -v[108:109]
	v_add_f64 v[110:111], v[110:111], v[84:85]
	v_add_f64 v[118:119], v[118:119], v[134:135]
	;; [unrolled: 1-line block ×4, first 2 shown]
	v_fma_f64 v[114:115], -0.5, v[110:111], v[98:99]
	v_add_f64 v[108:109], v[102:103], -v[108:109]
	v_fma_f64 v[102:103], s[20:21], v[108:109], v[114:115]
	v_add_f64 v[104:105], v[104:105], -v[106:107]
	v_add_f64 v[106:107], v[80:81], -v[82:83]
	;; [unrolled: 1-line block ×3, first 2 shown]
	v_fmac_f64_e32 v[114:115], s[14:15], v[108:109]
	v_fmac_f64_e32 v[102:103], s[22:23], v[104:105]
	v_add_f64 v[106:107], v[106:107], v[110:111]
	v_fmac_f64_e32 v[114:115], s[2:3], v[104:105]
	v_fmac_f64_e32 v[102:103], s[18:19], v[106:107]
	;; [unrolled: 1-line block ×3, first 2 shown]
	v_add_f64 v[106:107], v[80:81], v[86:87]
	v_fmac_f64_e32 v[98:99], -0.5, v[106:107]
	v_fmac_f64_e32 v[116:117], s[18:19], v[118:119]
	v_fmac_f64_e32 v[96:97], s[18:19], v[118:119]
	v_fma_f64 v[118:119], s[14:15], v[104:105], v[98:99]
	v_add_f64 v[80:81], v[82:83], -v[80:81]
	v_add_f64 v[82:83], v[84:85], -v[86:87]
	v_fmac_f64_e32 v[98:99], s[20:21], v[104:105]
	v_fmac_f64_e32 v[118:119], s[22:23], v[108:109]
	v_add_f64 v[80:81], v[80:81], v[82:83]
	v_fmac_f64_e32 v[98:99], s[2:3], v[108:109]
	v_fmac_f64_e32 v[118:119], s[18:19], v[80:81]
	;; [unrolled: 1-line block ×3, first 2 shown]
	v_mul_u32_u24_e32 v80, 45, v121
	v_add_lshl_u32 v80, v80, v122, 4
	ds_write_b128 v80, v[36:39]
	ds_write_b128 v80, v[40:43] offset:144
	ds_write_b128 v80, v[44:47] offset:288
	ds_write_b128 v80, v[20:23] offset:432
	v_mul_u32_u24_e32 v20, 45, v123
	v_add_lshl_u32 v20, v20, v124, 4
	ds_write_b128 v80, v[32:35] offset:576
	ds_write_b128 v20, v[52:55]
	ds_write_b128 v20, v[56:59] offset:144
	ds_write_b128 v20, v[60:63] offset:288
	ds_write_b128 v20, v[16:19] offset:432
	v_mul_u32_u24_e32 v16, 45, v125
	v_add_lshl_u32 v16, v16, v126, 4
	ds_write_b128 v20, v[48:51] offset:576
	;; [unrolled: 7-line block ×3, first 2 shown]
	ds_write_b128 v0, v[12:15]
	ds_write_b128 v0, v[72:75] offset:144
	ds_write_b128 v0, v[76:79] offset:288
	ds_write_b128 v0, v[24:27] offset:432
	v_accvgpr_write_b32 a1, v0
	ds_write_b128 v0, v[8:11] offset:576
	v_mad_legacy_u16 v0, v129, 45, v130
	v_accvgpr_write_b32 a219, v167
	v_accvgpr_write_b32 a227, v175
	;; [unrolled: 1-line block ×8, first 2 shown]
	v_lshlrev_b32_e32 v0, 4, v0
	v_accvgpr_write_b32 a218, v166
	v_accvgpr_write_b32 a217, v165
	;; [unrolled: 1-line block ×24, first 2 shown]
	ds_write_b128 v0, v[132:135]
	ds_write_b128 v0, v[100:103] offset:144
	ds_write_b128 v0, v[116:119] offset:288
	;; [unrolled: 1-line block ×3, first 2 shown]
	v_accvgpr_write_b32 a24, v0
	ds_write_b128 v0, v[112:115] offset:576
	s_waitcnt lgkmcnt(0)
	; wave barrier
	s_waitcnt lgkmcnt(0)
	ds_read_b128 v[0:3], v120
	ds_read_b128 v[108:111], v120 offset:1008
	ds_read_b128 v[220:223], v120 offset:7200
	;; [unrolled: 1-line block ×20, first 2 shown]
	v_accvgpr_write_b32 a231, v181
	v_accvgpr_write_b32 a106, v194
	;; [unrolled: 1-line block ×35, first 2 shown]
	v_cmp_gt_u16_e64 s[2:3], 36, v176
                                        ; implicit-def: $vgpr208_vgpr209
	s_and_saveexec_b64 s[14:15], s[2:3]
	s_cbranch_execz .LBB0_13
; %bb.12:
	ds_read_b128 v[100:103], v120 offset:3024
	ds_read_b128 v[116:119], v120 offset:6624
	;; [unrolled: 1-line block ×7, first 2 shown]
.LBB0_13:
	s_or_b64 exec, exec, s[14:15]
	v_accvgpr_read_b32 v56, a2
	v_subrev_u32_e32 v4, 45, v56
	v_cmp_gt_u16_e32 vcc, 45, v56
	v_cndmask_b32_e32 v121, v4, v56, vcc
	v_mul_i32_i24_e32 v4, 0x60, v121
	v_mul_hi_i32_i24_e32 v5, 0x60, v121
	v_mov_b32_e32 v6, s5
	v_add_co_u32_e32 v4, vcc, s4, v4
	v_addc_co_u32_e32 v5, vcc, v6, v5, vcc
	s_movk_i32 s15, 0x6d
	global_load_dwordx4 v[48:51], v[4:5], off offset:672
	global_load_dwordx4 v[44:47], v[4:5], off offset:688
	;; [unrolled: 1-line block ×6, first 2 shown]
	v_mul_lo_u16_sdwa v4, v232, s15 dst_sel:DWORD dst_unused:UNUSED_PAD src0_sel:BYTE_0 src1_sel:DWORD
	v_sub_u16_sdwa v5, v232, v4 dst_sel:DWORD dst_unused:UNUSED_PAD src0_sel:DWORD src1_sel:BYTE_1
	v_lshrrev_b16_e32 v5, 1, v5
	v_and_b32_e32 v5, 0x7f, v5
	v_add_u16_sdwa v4, v5, v4 dst_sel:DWORD dst_unused:UNUSED_PAD src0_sel:DWORD src1_sel:BYTE_1
	v_lshrrev_b16_e32 v123, 5, v4
	v_mul_lo_u16_e32 v4, 45, v123
	v_mul_lo_u16_sdwa v8, v230, s15 dst_sel:DWORD dst_unused:UNUSED_PAD src0_sel:BYTE_0 src1_sel:DWORD
	v_sub_u16_e32 v4, v232, v4
	v_sub_u16_sdwa v9, v230, v8 dst_sel:DWORD dst_unused:UNUSED_PAD src0_sel:DWORD src1_sel:BYTE_1
	s_movk_i32 s14, 0x60
	v_and_b32_e32 v176, 0xff, v4
	v_pk_mov_b32 v[4:5], s[4:5], s[4:5] op_sel:[0,1]
	v_lshrrev_b16_e32 v9, 1, v9
	v_mad_u64_u32 v[6:7], s[18:19], v176, s14, v[4:5]
	v_and_b32_e32 v9, 0x7f, v9
	global_load_dwordx4 v[196:199], v[6:7], off offset:672
	global_load_dwordx4 v[192:195], v[6:7], off offset:688
	global_load_dwordx4 v[188:191], v[6:7], off offset:704
	global_load_dwordx4 v[180:183], v[6:7], off offset:720
	global_load_dwordx4 v[200:203], v[6:7], off offset:752
	global_load_dwordx4 v[204:207], v[6:7], off offset:736
	v_add_u16_sdwa v6, v9, v8 dst_sel:DWORD dst_unused:UNUSED_PAD src0_sel:DWORD src1_sel:BYTE_1
	v_lshrrev_b16_e32 v177, 5, v6
	v_mul_lo_u16_e32 v6, 45, v177
	v_sub_u16_e32 v6, v230, v6
	v_mul_lo_u16_sdwa v8, v229, s15 dst_sel:DWORD dst_unused:UNUSED_PAD src0_sel:BYTE_0 src1_sel:DWORD
	v_and_b32_e32 v178, 0xff, v6
	v_sub_u16_sdwa v9, v229, v8 dst_sel:DWORD dst_unused:UNUSED_PAD src0_sel:DWORD src1_sel:BYTE_1
	v_mad_u64_u32 v[6:7], s[18:19], v178, s14, v[4:5]
	v_lshrrev_b16_e32 v9, 1, v9
	global_load_dwordx4 v[76:79], v[6:7], off offset:672
	global_load_dwordx4 v[72:75], v[6:7], off offset:688
	global_load_dwordx4 v[234:237], v[6:7], off offset:704
	global_load_dwordx4 v[224:227], v[6:7], off offset:720
	v_and_b32_e32 v9, 0x7f, v9
	global_load_dwordx4 v[80:83], v[6:7], off offset:752
	global_load_dwordx4 v[40:43], v[6:7], off offset:736
	v_add_u16_sdwa v6, v9, v8 dst_sel:DWORD dst_unused:UNUSED_PAD src0_sel:DWORD src1_sel:BYTE_1
	v_lshrrev_b16_e32 v6, 5, v6
	v_mul_lo_u16_e32 v6, 45, v6
	v_sub_u16_e32 v6, v229, v6
	v_and_b32_e32 v179, 0xff, v6
	buffer_store_dword v6, off, s[40:43], 0 offset:420 ; 4-byte Folded Spill
	v_mad_u64_u32 v[4:5], s[14:15], v179, s14, v[4:5]
	global_load_dwordx4 v[28:31], v[4:5], off offset:672
	global_load_dwordx4 v[66:69], v[4:5], off offset:688
	;; [unrolled: 1-line block ×6, first 2 shown]
	s_mov_b32 s22, 0xe976ee23
	s_mov_b32 s18, 0x37e14327
	;; [unrolled: 1-line block ×20, first 2 shown]
	v_cmp_lt_u16_e32 vcc, 44, v56
	s_waitcnt lgkmcnt(0)
	; wave barrier
	s_waitcnt vmcnt(24) lgkmcnt(0)
	v_mul_f64 v[4:5], v[242:243], v[50:51]
	s_waitcnt vmcnt(23)
	v_mul_f64 v[8:9], v[222:223], v[46:47]
	s_waitcnt vmcnt(22)
	;; [unrolled: 2-line block ×3, first 2 shown]
	v_mul_f64 v[16:17], v[218:219], v[34:35]
	v_mul_f64 v[18:19], v[216:217], v[34:35]
	v_accvgpr_write_b32 a12, v32
	s_waitcnt vmcnt(19)
	v_mul_f64 v[20:21], v[214:215], v[54:55]
	v_mul_f64 v[14:15], v[244:245], v[38:39]
	v_accvgpr_write_b32 a26, v36
	v_fma_f64 v[16:17], v[216:217], v[32:33], -v[16:17]
	v_accvgpr_write_b32 a13, v33
	v_accvgpr_write_b32 a14, v34
	;; [unrolled: 1-line block ×3, first 2 shown]
	v_fmac_f64_e32 v[18:19], v[218:219], v[32:33]
	v_fma_f64 v[32:33], v[212:213], v[52:53], -v[20:21]
	v_mul_f64 v[20:21], v[170:171], v[24:25]
	v_mul_f64 v[10:11], v[220:221], v[46:47]
	v_accvgpr_write_b32 a8, v44
	v_fma_f64 v[12:13], v[244:245], v[36:37], -v[12:13]
	v_accvgpr_write_b32 a27, v37
	v_accvgpr_write_b32 a28, v38
	;; [unrolled: 1-line block ×3, first 2 shown]
	v_fmac_f64_e32 v[14:15], v[246:247], v[36:37]
	v_fma_f64 v[36:37], v[168:169], v[22:23], -v[20:21]
	s_waitcnt vmcnt(18)
	v_mul_f64 v[20:21], v[174:175], v[198:199]
	v_mul_f64 v[6:7], v[240:241], v[50:51]
	v_accvgpr_write_b32 a30, v48
	v_fma_f64 v[8:9], v[220:221], v[44:45], -v[8:9]
	v_accvgpr_write_b32 a9, v45
	v_accvgpr_write_b32 a10, v46
	;; [unrolled: 1-line block ×3, first 2 shown]
	v_fmac_f64_e32 v[10:11], v[222:223], v[44:45]
	v_fma_f64 v[44:45], v[172:173], v[196:197], -v[20:21]
	s_waitcnt vmcnt(17)
	v_mul_f64 v[20:21], v[158:159], v[194:195]
	v_fma_f64 v[4:5], v[240:241], v[48:49], -v[4:5]
	v_accvgpr_write_b32 a31, v49
	v_accvgpr_write_b32 a32, v50
	;; [unrolled: 1-line block ×3, first 2 shown]
	v_fmac_f64_e32 v[6:7], v[242:243], v[48:49]
	v_mul_f64 v[34:35], v[212:213], v[54:55]
	v_accvgpr_write_b32 a20, v52
	v_fma_f64 v[48:49], v[156:157], v[192:193], -v[20:21]
	s_waitcnt vmcnt(16)
	v_mul_f64 v[20:21], v[166:167], v[190:191]
	v_accvgpr_write_b32 a21, v53
	v_accvgpr_write_b32 a22, v54
	;; [unrolled: 1-line block ×3, first 2 shown]
	v_fmac_f64_e32 v[34:35], v[214:215], v[52:53]
	v_fma_f64 v[52:53], v[164:165], v[188:189], -v[20:21]
	s_waitcnt vmcnt(15)
	v_mul_f64 v[20:21], v[154:155], v[182:183]
	v_mul_f64 v[38:39], v[168:169], v[24:25]
	v_fma_f64 v[168:169], v[152:153], v[180:181], -v[20:21]
	s_waitcnt vmcnt(13)
	v_mul_f64 v[20:21], v[162:163], v[206:207]
	v_accvgpr_write_b32 a55, v25
	v_fmac_f64_e32 v[38:39], v[170:171], v[22:23]
	v_mul_f64 v[46:47], v[172:173], v[198:199]
	v_mul_f64 v[170:171], v[152:153], v[182:183]
	v_accvgpr_write_b32 a90, v180
	v_fma_f64 v[172:173], v[160:161], v[204:205], -v[20:21]
	v_mul_f64 v[20:21], v[146:147], v[202:203]
	v_accvgpr_write_b32 a54, v24
	v_accvgpr_write_b32 a53, v23
	;; [unrolled: 1-line block ×6, first 2 shown]
	v_fmac_f64_e32 v[170:171], v[154:155], v[180:181]
	v_fma_f64 v[180:181], v[144:145], v[200:201], -v[20:21]
	s_waitcnt vmcnt(12)
	v_mul_f64 v[20:21], v[150:151], v[78:79]
	s_waitcnt vmcnt(11)
	v_mul_f64 v[24:25], v[142:143], v[74:75]
	v_fma_f64 v[20:21], v[148:149], v[76:77], -v[20:21]
	v_mul_f64 v[22:23], v[148:149], v[78:79]
	v_fma_f64 v[148:149], v[140:141], v[72:73], -v[24:25]
	s_waitcnt vmcnt(10)
	v_mul_f64 v[24:25], v[138:139], v[236:237]
	v_fma_f64 v[152:153], v[136:137], v[234:235], -v[24:25]
	s_waitcnt vmcnt(9)
	v_mul_f64 v[24:25], v[134:135], v[226:227]
	v_mul_f64 v[50:51], v[156:157], v[194:195]
	v_fma_f64 v[156:157], v[132:133], v[224:225], -v[24:25]
	s_waitcnt vmcnt(7)
	v_mul_f64 v[24:25], v[130:131], v[42:43]
	v_fmac_f64_e32 v[46:47], v[174:175], v[196:197]
	v_mul_f64 v[174:175], v[160:161], v[206:207]
	v_fma_f64 v[160:161], v[128:129], v[40:41], -v[24:25]
	v_mul_f64 v[24:25], v[126:127], v[82:83]
	v_mul_f64 v[54:55], v[164:165], v[190:191]
	v_fma_f64 v[164:165], v[124:125], v[80:81], -v[24:25]
	s_waitcnt vmcnt(5)
	v_mul_f64 v[24:25], v[118:119], v[30:31]
	v_mul_f64 v[26:27], v[116:117], v[30:31]
	v_accvgpr_write_b32 a247, v31
	v_fma_f64 v[24:25], v[116:117], v[28:29], -v[24:25]
	v_accvgpr_write_b32 a246, v30
	v_accvgpr_write_b32 a245, v29
	;; [unrolled: 1-line block ×3, first 2 shown]
	v_fmac_f64_e32 v[26:27], v[118:119], v[28:29]
	s_waitcnt vmcnt(4)
	v_mul_f64 v[28:29], v[98:99], v[68:69]
	v_fmac_f64_e32 v[50:51], v[158:159], v[192:193]
	v_mul_f64 v[158:159], v[132:133], v[226:227]
	v_fma_f64 v[132:133], v[96:97], v[66:67], -v[28:29]
	s_waitcnt vmcnt(2)
	v_mul_f64 v[28:29], v[114:115], v[64:65]
	v_mul_f64 v[154:155], v[136:137], v[236:237]
	v_fma_f64 v[136:137], v[112:113], v[62:63], -v[28:29]
	v_mul_f64 v[28:29], v[94:95], v[60:61]
	v_fmac_f64_e32 v[22:23], v[150:151], v[76:77]
	v_mul_f64 v[150:151], v[140:141], v[74:75]
	v_fma_f64 v[140:141], v[92:93], v[58:59], -v[28:29]
	s_waitcnt vmcnt(0)
	v_mul_f64 v[28:29], v[90:91], v[186:187]
	v_mul_f64 v[182:183], v[144:145], v[202:203]
	v_fma_f64 v[144:145], v[88:89], v[184:185], -v[28:29]
	v_mul_f64 v[28:29], v[210:211], v[86:87]
	v_mul_f64 v[30:31], v[208:209], v[86:87]
	v_accvgpr_write_b32 a185, v87
	v_fma_f64 v[28:29], v[208:209], v[84:85], -v[28:29]
	v_accvgpr_write_b32 a184, v86
	v_accvgpr_write_b32 a183, v85
	;; [unrolled: 1-line block ×3, first 2 shown]
	v_fmac_f64_e32 v[30:31], v[210:211], v[84:85]
	v_add_f64 v[84:85], v[4:5], v[36:37]
	v_add_f64 v[4:5], v[4:5], -v[36:37]
	v_add_f64 v[36:37], v[8:9], v[32:33]
	v_add_f64 v[86:87], v[6:7], v[38:39]
	v_add_f64 v[6:7], v[6:7], -v[38:39]
	v_add_f64 v[38:39], v[10:11], v[34:35]
	v_add_f64 v[8:9], v[8:9], -v[32:33]
	;; [unrolled: 2-line block ×3, first 2 shown]
	v_add_f64 v[16:17], v[36:37], v[84:85]
	v_fmac_f64_e32 v[182:183], v[146:147], v[200:201]
	v_mul_f64 v[146:147], v[88:89], v[186:187]
	v_add_f64 v[10:11], v[10:11], -v[34:35]
	v_add_f64 v[34:35], v[14:15], v[18:19]
	v_add_f64 v[14:15], v[18:19], -v[14:15]
	v_add_f64 v[18:19], v[38:39], v[86:87]
	v_add_f64 v[88:89], v[12:13], v[8:9]
	;; [unrolled: 1-line block ×3, first 2 shown]
	v_fmac_f64_e32 v[54:55], v[166:167], v[188:189]
	v_fmac_f64_e32 v[150:151], v[142:143], v[72:73]
	;; [unrolled: 1-line block ×3, first 2 shown]
	v_mul_f64 v[166:167], v[124:125], v[82:83]
	v_mul_f64 v[134:135], v[96:97], v[68:69]
	;; [unrolled: 1-line block ×3, first 2 shown]
	v_fmac_f64_e32 v[146:147], v[90:91], v[184:185]
	v_add_f64 v[90:91], v[14:15], v[10:11]
	v_add_f64 v[96:97], v[12:13], -v[8:9]
	v_add_f64 v[12:13], v[4:5], -v[12:13]
	;; [unrolled: 1-line block ×3, first 2 shown]
	v_add_f64 v[18:19], v[34:35], v[18:19]
	v_add_f64 v[4:5], v[88:89], v[4:5]
	;; [unrolled: 1-line block ×3, first 2 shown]
	v_fmac_f64_e32 v[166:167], v[126:127], v[80:81]
	v_fmac_f64_e32 v[134:135], v[98:99], v[66:67]
	;; [unrolled: 1-line block ×3, first 2 shown]
	v_add_f64 v[92:93], v[36:37], -v[84:85]
	v_add_f64 v[94:95], v[38:39], -v[86:87]
	;; [unrolled: 1-line block ×8, first 2 shown]
	v_add_f64 v[6:7], v[90:91], v[6:7]
	v_add_f64 v[90:91], v[2:3], v[18:19]
	v_mul_f64 v[126:127], v[96:97], s[22:23]
	v_pk_mov_b32 v[96:97], v[88:89], v[88:89] op_sel:[0,1]
	v_add_f64 v[86:87], v[86:87], -v[34:35]
	v_mul_f64 v[0:1], v[84:85], s[18:19]
	v_mul_f64 v[32:33], v[36:37], s[14:15]
	;; [unrolled: 1-line block ×4, first 2 shown]
	v_fmac_f64_e32 v[96:97], s[24:25], v[16:17]
	v_pk_mov_b32 v[16:17], v[90:91], v[90:91] op_sel:[0,1]
	v_mul_f64 v[2:3], v[86:87], s[18:19]
	v_mul_f64 v[84:85], v[8:9], s[20:21]
	;; [unrolled: 1-line block ×3, first 2 shown]
	v_fmac_f64_e32 v[16:17], s[24:25], v[18:19]
	v_fma_f64 v[18:19], v[92:93], s[26:27], -v[32:33]
	v_fma_f64 v[32:33], v[94:95], s[26:27], -v[34:35]
	;; [unrolled: 1-line block ×3, first 2 shown]
	v_fmac_f64_e32 v[0:1], s[14:15], v[36:37]
	v_fma_f64 v[8:9], v[8:9], s[20:21], -v[126:127]
	v_fma_f64 v[10:11], v[10:11], s[20:21], -v[124:125]
	v_fmac_f64_e32 v[124:125], s[30:31], v[14:15]
	v_fmac_f64_e32 v[154:155], v[138:139], v[234:235]
	v_mul_f64 v[138:139], v[112:113], v[64:65]
	v_fma_f64 v[36:37], v[94:95], s[28:29], -v[2:3]
	v_fmac_f64_e32 v[2:3], s[14:15], v[38:39]
	v_fmac_f64_e32 v[126:127], s[30:31], v[12:13]
	v_fma_f64 v[12:13], v[12:13], s[36:37], -v[84:85]
	v_add_f64 v[0:1], v[0:1], v[96:97]
	v_add_f64 v[32:33], v[32:33], v[16:17]
	v_fmac_f64_e32 v[124:125], s[34:35], v[6:7]
	v_fmac_f64_e32 v[8:9], s[34:35], v[4:5]
	;; [unrolled: 1-line block ×4, first 2 shown]
	v_fma_f64 v[14:15], v[14:15], s[36:37], -v[86:87]
	v_add_f64 v[2:3], v[2:3], v[16:17]
	v_add_f64 v[18:19], v[18:19], v[96:97]
	;; [unrolled: 1-line block ×3, first 2 shown]
	v_fmac_f64_e32 v[126:127], s[34:35], v[4:5]
	v_fmac_f64_e32 v[10:11], s[34:35], v[6:7]
	;; [unrolled: 1-line block ×3, first 2 shown]
	v_add_f64 v[92:93], v[124:125], v[0:1]
	v_add_f64 v[114:115], v[8:9], v[32:33]
	v_add_f64 v[118:119], v[32:33], -v[8:9]
	v_add_f64 v[124:125], v[0:1], -v[124:125]
	v_add_f64 v[0:1], v[44:45], v[180:181]
	v_add_f64 v[8:9], v[48:49], v[172:173]
	;; [unrolled: 1-line block ×3, first 2 shown]
	v_fmac_f64_e32 v[14:15], s[34:35], v[6:7]
	v_add_f64 v[94:95], v[2:3], -v[126:127]
	v_add_f64 v[98:99], v[16:17], -v[12:13]
	;; [unrolled: 1-line block ×3, first 2 shown]
	v_add_f64 v[116:117], v[10:11], v[18:19]
	v_add_f64 v[86:87], v[12:13], v[16:17]
	;; [unrolled: 1-line block ×5, first 2 shown]
	v_add_f64 v[12:13], v[48:49], -v[172:173]
	v_add_f64 v[16:17], v[52:53], v[168:169]
	v_add_f64 v[32:33], v[168:169], -v[52:53]
	v_add_f64 v[36:37], v[8:9], v[0:1]
	v_add_f64 v[96:97], v[14:15], v[34:35]
	v_add_f64 v[84:85], v[34:35], -v[14:15]
	v_add_f64 v[4:5], v[44:45], -v[180:181]
	;; [unrolled: 1-line block ×3, first 2 shown]
	v_add_f64 v[18:19], v[54:55], v[170:171]
	v_add_f64 v[34:35], v[170:171], -v[54:55]
	v_add_f64 v[38:39], v[10:11], v[2:3]
	v_add_f64 v[44:45], v[8:9], -v[0:1]
	v_add_f64 v[48:49], v[0:1], -v[16:17]
	;; [unrolled: 1-line block ×3, first 2 shown]
	v_add_f64 v[0:1], v[32:33], v[12:13]
	v_add_f64 v[16:17], v[16:17], v[36:37]
	v_add_f64 v[6:7], v[46:47], -v[182:183]
	v_add_f64 v[46:47], v[10:11], -v[2:3]
	;; [unrolled: 1-line block ×4, first 2 shown]
	v_add_f64 v[2:3], v[34:35], v[14:15]
	v_add_f64 v[52:53], v[32:33], -v[12:13]
	v_add_f64 v[32:33], v[4:5], -v[32:33]
	;; [unrolled: 1-line block ×3, first 2 shown]
	v_add_f64 v[18:19], v[18:19], v[38:39]
	v_add_f64 v[4:5], v[0:1], v[4:5]
	;; [unrolled: 1-line block ×3, first 2 shown]
	v_mul_f64 v[162:163], v[128:129], v[42:43]
	v_add_f64 v[54:55], v[34:35], -v[14:15]
	v_add_f64 v[34:35], v[6:7], -v[34:35]
	;; [unrolled: 1-line block ×3, first 2 shown]
	v_add_f64 v[6:7], v[2:3], v[6:7]
	v_add_f64 v[2:3], v[110:111], v[18:19]
	v_pk_mov_b32 v[128:129], v[0:1], v[0:1] op_sel:[0,1]
	v_mul_f64 v[36:37], v[48:49], s[18:19]
	v_mul_f64 v[38:39], v[50:51], s[18:19]
	;; [unrolled: 1-line block ×7, first 2 shown]
	v_fmac_f64_e32 v[128:129], s[24:25], v[16:17]
	v_pk_mov_b32 v[16:17], v[2:3], v[2:3] op_sel:[0,1]
	v_mul_f64 v[110:111], v[14:15], s[20:21]
	v_fmac_f64_e32 v[16:17], s[24:25], v[18:19]
	v_fma_f64 v[18:19], v[44:45], s[26:27], -v[48:49]
	v_fma_f64 v[48:49], v[46:47], s[26:27], -v[50:51]
	;; [unrolled: 1-line block ×3, first 2 shown]
	v_fmac_f64_e32 v[36:37], s[14:15], v[8:9]
	v_fma_f64 v[8:9], v[46:47], s[28:29], -v[38:39]
	v_fma_f64 v[46:47], v[12:13], s[20:21], -v[52:53]
	v_fmac_f64_e32 v[52:53], s[30:31], v[32:33]
	v_fma_f64 v[50:51], v[14:15], s[20:21], -v[54:55]
	v_fmac_f64_e32 v[54:55], s[30:31], v[34:35]
	;; [unrolled: 2-line block ×3, first 2 shown]
	v_fma_f64 v[34:35], v[34:35], s[36:37], -v[110:111]
	v_add_f64 v[36:37], v[36:37], v[128:129]
	v_add_f64 v[110:111], v[8:9], v[16:17]
	v_fmac_f64_e32 v[54:55], s[34:35], v[6:7]
	v_fmac_f64_e32 v[32:33], s[34:35], v[4:5]
	v_fmac_f64_e32 v[162:163], v[130:131], v[40:41]
	v_add_f64 v[38:39], v[38:39], v[16:17]
	v_add_f64 v[18:19], v[18:19], v[128:129]
	;; [unrolled: 1-line block ×4, first 2 shown]
	v_fmac_f64_e32 v[52:53], s[34:35], v[4:5]
	v_fmac_f64_e32 v[46:47], s[34:35], v[4:5]
	;; [unrolled: 1-line block ×4, first 2 shown]
	v_add_f64 v[4:5], v[54:55], v[36:37]
	v_add_f64 v[10:11], v[110:111], -v[32:33]
	v_add_f64 v[110:111], v[32:33], v[110:111]
	v_add_f64 v[128:129], v[36:37], -v[54:55]
	v_add_f64 v[32:33], v[20:21], v[164:165]
	v_add_f64 v[36:37], v[148:149], v[160:161]
	v_add_f64 v[6:7], v[38:39], -v[52:53]
	v_add_f64 v[8:9], v[34:35], v[44:45]
	v_add_f64 v[12:13], v[18:19], -v[50:51]
	v_add_f64 v[14:15], v[46:47], v[48:49]
	v_add_f64 v[16:17], v[50:51], v[18:19]
	v_add_f64 v[18:19], v[48:49], -v[46:47]
	v_add_f64 v[108:109], v[44:45], -v[34:35]
	v_add_f64 v[130:131], v[52:53], v[38:39]
	v_add_f64 v[34:35], v[22:23], v[166:167]
	;; [unrolled: 1-line block ×3, first 2 shown]
	v_add_f64 v[44:45], v[148:149], -v[160:161]
	v_add_f64 v[48:49], v[152:153], v[156:157]
	v_add_f64 v[52:53], v[156:157], -v[152:153]
	v_add_f64 v[148:149], v[36:37], v[32:33]
	v_add_f64 v[20:21], v[20:21], -v[164:165]
	v_add_f64 v[46:47], v[150:151], -v[162:163]
	v_add_f64 v[50:51], v[154:155], v[158:159]
	v_add_f64 v[54:55], v[158:159], -v[154:155]
	v_add_f64 v[150:151], v[38:39], v[34:35]
	v_add_f64 v[152:153], v[36:37], -v[32:33]
	v_add_f64 v[32:33], v[32:33], -v[48:49]
	;; [unrolled: 1-line block ×3, first 2 shown]
	v_add_f64 v[156:157], v[52:53], v[44:45]
	v_add_f64 v[48:49], v[48:49], v[148:149]
	v_add_f64 v[22:23], v[22:23], -v[166:167]
	v_add_f64 v[154:155], v[38:39], -v[34:35]
	;; [unrolled: 1-line block ×4, first 2 shown]
	v_add_f64 v[158:159], v[54:55], v[46:47]
	v_add_f64 v[160:161], v[52:53], -v[44:45]
	v_add_f64 v[52:53], v[20:21], -v[52:53]
	;; [unrolled: 1-line block ×3, first 2 shown]
	v_add_f64 v[50:51], v[50:51], v[150:151]
	v_add_f64 v[148:149], v[156:157], v[20:21]
	;; [unrolled: 1-line block ×3, first 2 shown]
	v_add_f64 v[162:163], v[54:55], -v[46:47]
	v_add_f64 v[54:55], v[22:23], -v[54:55]
	;; [unrolled: 1-line block ×3, first 2 shown]
	v_add_f64 v[150:151], v[158:159], v[22:23]
	v_add_f64 v[22:23], v[106:107], v[50:51]
	v_mul_f64 v[174:175], v[160:161], s[22:23]
	v_pk_mov_b32 v[160:161], v[20:21], v[20:21] op_sel:[0,1]
	v_mul_f64 v[32:33], v[32:33], s[18:19]
	v_mul_f64 v[34:35], v[34:35], s[18:19]
	;; [unrolled: 1-line block ×4, first 2 shown]
	v_fmac_f64_e32 v[160:161], s[24:25], v[48:49]
	v_pk_mov_b32 v[48:49], v[22:23], v[22:23] op_sel:[0,1]
	v_mul_f64 v[172:173], v[162:163], s[22:23]
	v_mul_f64 v[156:157], v[44:45], s[20:21]
	v_fmac_f64_e32 v[48:49], s[24:25], v[50:51]
	v_fma_f64 v[50:51], v[152:153], s[26:27], -v[104:105]
	v_fma_f64 v[104:105], v[154:155], s[26:27], -v[106:107]
	;; [unrolled: 1-line block ×3, first 2 shown]
	v_fmac_f64_e32 v[32:33], s[14:15], v[36:37]
	v_fma_f64 v[36:37], v[154:155], s[28:29], -v[34:35]
	v_fmac_f64_e32 v[34:35], s[14:15], v[38:39]
	v_fma_f64 v[38:39], v[44:45], s[20:21], -v[174:175]
	v_fmac_f64_e32 v[174:175], s[30:31], v[52:53]
	v_mul_f64 v[158:159], v[46:47], s[20:21]
	v_fma_f64 v[44:45], v[46:47], s[20:21], -v[172:173]
	v_fmac_f64_e32 v[172:173], s[30:31], v[54:55]
	v_fma_f64 v[46:47], v[52:53], s[36:37], -v[156:157]
	v_add_f64 v[34:35], v[34:35], v[48:49]
	v_fmac_f64_e32 v[174:175], s[34:35], v[148:149]
	v_fma_f64 v[52:53], v[54:55], s[36:37], -v[158:159]
	v_add_f64 v[32:33], v[32:33], v[160:161]
	v_add_f64 v[50:51], v[50:51], v[160:161]
	;; [unrolled: 1-line block ×4, first 2 shown]
	v_fmac_f64_e32 v[172:173], s[34:35], v[150:151]
	v_fmac_f64_e32 v[38:39], s[34:35], v[148:149]
	;; [unrolled: 1-line block ×4, first 2 shown]
	v_add_f64 v[154:155], v[34:35], -v[174:175]
	v_add_f64 v[174:175], v[174:175], v[34:35]
	v_add_f64 v[34:35], v[26:27], v[30:31]
	v_add_f64 v[26:27], v[26:27], -v[30:31]
	v_add_f64 v[30:31], v[134:135], v[146:147]
	v_add_f64 v[104:105], v[106:107], v[160:161]
	v_fmac_f64_e32 v[52:53], s[34:35], v[150:151]
	v_add_f64 v[152:153], v[172:173], v[32:33]
	v_add_f64 v[158:159], v[36:37], -v[46:47]
	v_add_f64 v[160:161], v[50:51], -v[44:45]
	v_add_f64 v[162:163], v[38:39], v[54:55]
	v_add_f64 v[164:165], v[44:45], v[50:51]
	v_add_f64 v[166:167], v[54:55], -v[38:39]
	v_add_f64 v[170:171], v[46:47], v[36:37]
	v_add_f64 v[172:173], v[32:33], -v[172:173]
	;; [unrolled: 2-line block ×4, first 2 shown]
	v_add_f64 v[38:39], v[134:135], -v[146:147]
	v_add_f64 v[46:47], v[138:139], v[142:143]
	v_add_f64 v[48:49], v[140:141], -v[136:137]
	v_add_f64 v[50:51], v[142:143], -v[138:139]
	v_add_f64 v[54:55], v[30:31], v[34:35]
	v_add_f64 v[156:157], v[52:53], v[104:105]
	v_add_f64 v[168:169], v[104:105], -v[52:53]
	v_add_f64 v[44:45], v[136:137], v[140:141]
	v_add_f64 v[52:53], v[28:29], v[32:33]
	v_add_f64 v[106:107], v[30:31], -v[34:35]
	v_add_f64 v[34:35], v[34:35], -v[46:47]
	;; [unrolled: 1-line block ×3, first 2 shown]
	v_add_f64 v[134:135], v[50:51], v[38:39]
	v_add_f64 v[136:137], v[48:49], -v[36:37]
	v_add_f64 v[46:47], v[46:47], v[54:55]
	v_add_f64 v[104:105], v[28:29], -v[32:33]
	v_add_f64 v[32:33], v[32:33], -v[44:45]
	;; [unrolled: 1-line block ×3, first 2 shown]
	v_add_f64 v[28:29], v[48:49], v[36:37]
	v_add_f64 v[138:139], v[50:51], -v[38:39]
	v_add_f64 v[48:49], v[24:25], -v[48:49]
	;; [unrolled: 1-line block ×4, first 2 shown]
	v_add_f64 v[44:45], v[44:45], v[52:53]
	v_add_f64 v[54:55], v[134:135], v[26:27]
	;; [unrolled: 1-line block ×3, first 2 shown]
	v_mul_f64 v[34:35], v[34:35], s[18:19]
	v_mul_f64 v[134:135], v[136:137], s[22:23]
	v_add_f64 v[36:37], v[36:37], -v[24:25]
	v_add_f64 v[52:53], v[28:29], v[24:25]
	v_add_f64 v[24:25], v[100:101], v[44:45]
	v_mul_f64 v[32:33], v[32:33], s[18:19]
	v_mul_f64 v[102:103], v[30:31], s[14:15]
	;; [unrolled: 1-line block ×3, first 2 shown]
	v_fma_f64 v[46:47], s[24:25], v[46:47], v[26:27]
	v_fma_f64 v[144:145], v[106:107], s[28:29], -v[34:35]
	v_fmac_f64_e32 v[34:35], s[14:15], v[30:31]
	v_fma_f64 v[30:31], s[30:31], v[48:49], v[134:135]
	v_mul_f64 v[100:101], v[132:133], s[14:15]
	v_mul_f64 v[138:139], v[38:39], s[20:21]
	v_fma_f64 v[44:45], s[24:25], v[44:45], v[24:25]
	v_fma_f64 v[132:133], s[14:15], v[132:133], v[32:33]
	v_fma_f64 v[142:143], v[106:107], s[26:27], -v[102:103]
	v_fma_f64 v[38:39], v[38:39], s[20:21], -v[28:29]
	v_fmac_f64_e32 v[28:29], s[30:31], v[50:51]
	v_add_f64 v[34:35], v[34:35], v[46:47]
	v_fmac_f64_e32 v[30:31], s[34:35], v[52:53]
	v_fma_f64 v[140:141], v[104:105], s[26:27], -v[100:101]
	v_fma_f64 v[104:105], v[104:105], s[28:29], -v[32:33]
	;; [unrolled: 1-line block ×3, first 2 shown]
	v_add_f64 v[32:33], v[132:133], v[44:45]
	v_add_f64 v[134:135], v[142:143], v[46:47]
	;; [unrolled: 1-line block ×3, first 2 shown]
	v_fmac_f64_e32 v[28:29], s[34:35], v[54:55]
	v_add_f64 v[46:47], v[30:31], v[34:35]
	v_add_f64 v[106:107], v[140:141], v[44:45]
	;; [unrolled: 1-line block ×3, first 2 shown]
	v_add_f64 v[44:45], v[32:33], -v[28:29]
	v_accvgpr_write_b32 a59, v47
	v_accvgpr_write_b32 a58, v46
	;; [unrolled: 1-line block ×4, first 2 shown]
	v_mov_b32_e32 v44, 0x13b
	v_cndmask_b32_e32 v44, 0, v44, vcc
	v_add_lshl_u32 v44, v121, v44, 4
	v_mul_f64 v[136:137], v[36:37], s[20:21]
	ds_write_b128 v44, v[88:91]
	ds_write_b128 v44, v[92:95] offset:720
	ds_write_b128 v44, v[96:99] offset:1440
	;; [unrolled: 1-line block ×5, first 2 shown]
	v_accvgpr_write_b32 a25, v44
	ds_write_b128 v44, v[124:127] offset:4320
	v_mul_u32_u24_e32 v44, 0x13b, v123
	v_fma_f64 v[100:101], v[48:49], s[36:37], -v[136:137]
	v_fma_f64 v[36:37], v[50:51], s[36:37], -v[138:139]
	v_add_lshl_u32 v44, v44, v176, 4
	v_accvgpr_write_b32 a44, v196
	v_accvgpr_write_b32 a68, v192
	;; [unrolled: 1-line block ×11, first 2 shown]
	v_fmac_f64_e32 v[102:103], s[34:35], v[52:53]
	v_fmac_f64_e32 v[38:39], s[34:35], v[54:55]
	;; [unrolled: 1-line block ×4, first 2 shown]
	ds_write_b128 v44, v[0:3]
	ds_write_b128 v44, v[4:7] offset:720
	ds_write_b128 v44, v[8:11] offset:1440
	;; [unrolled: 1-line block ×5, first 2 shown]
	v_mul_u32_u24_e32 v0, 0x13b, v177
	v_accvgpr_write_b32 a45, v197
	v_accvgpr_write_b32 a46, v198
	;; [unrolled: 1-line block ×33, first 2 shown]
	v_add_f64 v[144:145], v[38:39], v[106:107]
	v_add_f64 v[146:147], v[134:135], -v[102:103]
	v_add_f64 v[148:149], v[104:105], -v[36:37]
	v_add_f64 v[150:151], v[100:101], v[132:133]
	v_accvgpr_write_b32 a38, v44
	v_add_lshl_u32 v121, v0, v178, 4
	ds_write_b128 v44, v[128:131] offset:4320
	ds_write_b128 v121, v[20:23]
	ds_write_b128 v121, v[152:155] offset:720
	ds_write_b128 v121, v[156:159] offset:1440
	;; [unrolled: 1-line block ×6, first 2 shown]
	s_and_saveexec_b64 s[14:15], s[2:3]
	s_cbranch_execz .LBB0_15
; %bb.14:
	v_lshlrev_b32_e32 v12, 4, v179
	v_add_f64 v[2:3], v[102:103], v[134:135]
	v_add_f64 v[0:1], v[106:107], -v[38:39]
	v_add_f64 v[6:7], v[132:133], -v[100:101]
	v_add_f64 v[4:5], v[36:37], v[104:105]
	v_add_f64 v[10:11], v[34:35], -v[30:31]
	v_add_f64 v[8:9], v[28:29], v[32:33]
	ds_write_b128 v12, v[24:27] offset:20160
	ds_write_b128 v12, v[8:11] offset:20880
	ds_write_b128 v12, v[4:7] offset:21600
	ds_write_b128 v12, v[0:3] offset:22320
	ds_write_b128 v12, v[144:147] offset:23040
	ds_write_b128 v12, v[148:151] offset:23760
	ds_write_b128 v12, a[56:59] offset:24480
.LBB0_15:
	s_or_b64 exec, exec, s[14:15]
	v_mov_b32_e32 v0, s17
	v_addc_co_u32_e64 v38, vcc, 0, v0, s[6:7]
	v_lshlrev_b32_e32 v0, 6, v56
	v_mov_b32_e32 v4, s5
	v_add_co_u32_e32 v2, vcc, s4, v0
	v_addc_co_u32_e32 v3, vcc, 0, v4, vcc
	s_movk_i32 s5, 0x1380
	v_add_co_u32_e32 v0, vcc, s5, v2
	v_addc_co_u32_e32 v1, vcc, 0, v3, vcc
	s_movk_i32 s6, 0x1000
	v_add_co_u32_e32 v2, vcc, s6, v2
	v_addc_co_u32_e32 v3, vcc, 0, v3, vcc
	s_waitcnt lgkmcnt(0)
	; wave barrier
	s_waitcnt lgkmcnt(0)
	ds_read_b128 v[156:159], v120
	ds_read_b128 v[160:163], v120 offset:1008
	ds_read_b128 v[152:155], v120 offset:10080
	;; [unrolled: 1-line block ×13, first 2 shown]
	global_load_dwordx4 v[208:211], v[2:3], off offset:896
	global_load_dwordx4 v[88:91], v[0:1], off offset:48
	global_load_dwordx4 v[92:95], v[0:1], off offset:32
	global_load_dwordx4 v[212:215], v[0:1], off offset:16
	v_lshlrev_b32_e32 v0, 6, v232
	v_add_co_u32_e32 v2, vcc, s4, v0
	v_addc_co_u32_e32 v3, vcc, 0, v4, vcc
	v_add_co_u32_e32 v0, vcc, s5, v2
	v_addc_co_u32_e32 v1, vcc, 0, v3, vcc
	v_add_co_u32_e32 v2, vcc, s6, v2
	v_addc_co_u32_e32 v3, vcc, 0, v3, vcc
	global_load_dwordx4 v[240:243], v[2:3], off offset:896
	global_load_dwordx4 v[216:219], v[0:1], off offset:48
	global_load_dwordx4 v[220:223], v[0:1], off offset:32
	global_load_dwordx4 v[244:247], v[0:1], off offset:16
	v_lshlrev_b32_e32 v0, 6, v230
	v_add_co_u32_e32 v2, vcc, s4, v0
	v_addc_co_u32_e32 v3, vcc, 0, v4, vcc
	v_add_co_u32_e32 v0, vcc, s5, v2
	v_addc_co_u32_e32 v1, vcc, 0, v3, vcc
	v_add_co_u32_e32 v2, vcc, s6, v2
	v_addc_co_u32_e32 v3, vcc, 0, v3, vcc
	;; [unrolled: 11-line block ×4, first 2 shown]
	global_load_dwordx4 v[128:131], v[0:1], off offset:896
	global_load_dwordx4 v[132:135], v[8:9], off offset:32
	;; [unrolled: 1-line block ×3, first 2 shown]
	ds_read_b128 v[18:21], v120 offset:22176
	ds_read_b128 v[22:25], v120 offset:23184
	;; [unrolled: 1-line block ×8, first 2 shown]
	global_load_dwordx4 v[136:139], v[8:9], off offset:48
	ds_read_b128 v[248:251], v120 offset:18144
	ds_read_b128 v[48:51], v120 offset:19152
	;; [unrolled: 1-line block ×3, first 2 shown]
	s_mov_b32 s6, 0x134454ff
	s_mov_b32 s7, 0x3fee6f0e
	;; [unrolled: 1-line block ×10, first 2 shown]
	s_waitcnt vmcnt(19) lgkmcnt(8)
	v_mul_f64 v[8:9], v[2:3], v[210:211]
	v_fma_f64 v[122:123], v[0:1], v[208:209], -v[8:9]
	v_mul_f64 v[56:57], v[0:1], v[210:211]
	s_waitcnt vmcnt(16)
	v_mul_f64 v[0:1], v[154:155], v[214:215]
	v_fma_f64 v[58:59], v[152:153], v[212:213], -v[0:1]
	v_mul_f64 v[60:61], v[152:153], v[214:215]
	s_waitcnt lgkmcnt(4)
	v_mul_f64 v[0:1], v[6:7], v[94:95]
	v_fma_f64 v[62:63], v[4:5], v[92:93], -v[0:1]
	v_mul_f64 v[0:1], v[182:183], v[90:91]
	v_fma_f64 v[66:67], v[180:181], v[88:89], -v[0:1]
	v_mul_f64 v[68:69], v[180:181], v[90:91]
	v_fmac_f64_e32 v[56:57], v[2:3], v[208:209]
	v_mul_f64 v[64:65], v[4:5], v[94:95]
	v_fmac_f64_e32 v[68:69], v[182:183], v[88:89]
	v_fmac_f64_e32 v[60:61], v[154:155], v[212:213]
	;; [unrolled: 1-line block ×3, first 2 shown]
	s_waitcnt vmcnt(14)
	v_mul_f64 v[6:7], v[186:187], v[218:219]
	s_waitcnt vmcnt(12)
	v_mul_f64 v[2:3], v[178:179], v[246:247]
	v_fma_f64 v[34:35], v[176:177], v[244:245], -v[2:3]
	v_mul_f64 v[2:3], v[176:177], v[246:247]
	v_fma_f64 v[70:71], v[184:185], v[216:217], -v[6:7]
	v_mul_f64 v[228:229], v[184:185], v[218:219]
	v_mul_f64 v[0:1], v[190:191], v[242:243]
	v_fma_f64 v[32:33], v[188:189], v[240:241], -v[0:1]
	v_mul_f64 v[0:1], v[188:189], v[242:243]
	v_fmac_f64_e32 v[2:3], v[178:179], v[244:245]
	v_fmac_f64_e32 v[228:229], v[186:187], v[216:217]
	;; [unrolled: 1-line block ×3, first 2 shown]
	v_mul_f64 v[4:5], v[198:199], v[222:223]
	s_waitcnt vmcnt(10)
	v_mul_f64 v[14:15], v[20:21], v[98:99]
	v_fma_f64 v[230:231], v[18:19], v[96:97], -v[14:15]
	v_mul_f64 v[14:15], v[18:19], v[98:99]
	v_fmac_f64_e32 v[14:15], v[20:21], v[96:97]
	v_fma_f64 v[36:37], v[196:197], v[220:221], -v[4:5]
	v_mul_f64 v[4:5], v[196:197], v[222:223]
	v_mul_f64 v[6:7], v[194:195], v[106:107]
	v_fmac_f64_e32 v[4:5], v[198:199], v[220:221]
	v_fma_f64 v[6:7], v[192:193], v[104:105], -v[6:7]
	v_mul_f64 v[8:9], v[192:193], v[106:107]
	s_waitcnt vmcnt(9)
	v_mul_f64 v[12:13], v[202:203], v[102:103]
	v_fma_f64 v[30:31], v[200:201], v[100:101], -v[12:13]
	v_mul_f64 v[12:13], v[200:201], v[102:103]
	s_waitcnt vmcnt(7)
	v_mul_f64 v[152:153], v[26:27], v[118:119]
	v_mul_f64 v[18:19], v[28:29], v[118:119]
	v_fmac_f64_e32 v[152:153], v[28:29], v[116:117]
	s_waitcnt vmcnt(4)
	v_mul_f64 v[20:21], v[226:227], v[126:127]
	v_fma_f64 v[252:253], v[224:225], v[124:125], -v[20:21]
	s_waitcnt lgkmcnt(2)
	v_mul_f64 v[20:21], v[250:251], v[86:87]
	v_fma_f64 v[254:255], v[248:249], v[84:85], -v[20:21]
	v_mul_f64 v[248:249], v[248:249], v[86:87]
	v_mul_f64 v[20:21], v[24:25], v[114:115]
	v_fmac_f64_e32 v[248:249], v[250:251], v[84:85]
	v_fma_f64 v[28:29], v[22:23], v[112:113], -v[20:21]
	v_mul_f64 v[250:251], v[22:23], v[114:115]
	v_fmac_f64_e32 v[250:251], v[24:25], v[112:113]
	v_mul_f64 v[10:11], v[206:207], v[110:111]
	v_fma_f64 v[16:17], v[204:205], v[108:109], -v[10:11]
	v_mul_f64 v[10:11], v[204:205], v[110:111]
	v_fmac_f64_e32 v[8:9], v[194:195], v[104:105]
	s_waitcnt vmcnt(3)
	v_mul_f64 v[20:21], v[236:237], v[130:131]
	s_waitcnt vmcnt(1)
	v_mul_f64 v[22:23], v[46:47], v[142:143]
	v_fma_f64 v[232:233], v[234:235], v[128:129], -v[20:21]
	v_mul_f64 v[20:21], v[234:235], v[130:131]
	v_fma_f64 v[234:235], v[44:45], v[140:141], -v[22:23]
	v_mul_f64 v[22:23], v[44:45], v[142:143]
	v_add_f64 v[44:45], v[156:157], v[122:123]
	v_add_f64 v[44:45], v[44:45], v[58:59]
	;; [unrolled: 1-line block ×3, first 2 shown]
	s_waitcnt lgkmcnt(1)
	v_mul_f64 v[24:25], v[50:51], v[134:135]
	v_add_f64 v[180:181], v[44:45], v[66:67]
	v_add_f64 v[44:45], v[58:59], v[62:63]
	v_fmac_f64_e32 v[20:21], v[236:237], v[128:129]
	v_fma_f64 v[236:237], v[48:49], v[132:133], -v[24:25]
	v_mul_f64 v[24:25], v[48:49], v[134:135]
	v_fma_f64 v[176:177], -0.5, v[44:45], v[156:157]
	v_add_f64 v[44:45], v[56:57], -v[68:69]
	v_fmac_f64_e32 v[22:23], v[46:47], v[140:141]
	v_fmac_f64_e32 v[24:25], v[50:51], v[132:133]
	v_fma_f64 v[184:185], s[6:7], v[44:45], v[176:177]
	v_add_f64 v[46:47], v[60:61], -v[64:65]
	v_add_f64 v[48:49], v[122:123], -v[58:59]
	;; [unrolled: 1-line block ×3, first 2 shown]
	v_fmac_f64_e32 v[176:177], s[16:17], v[44:45]
	v_fmac_f64_e32 v[184:185], s[4:5], v[46:47]
	v_add_f64 v[48:49], v[48:49], v[50:51]
	v_fmac_f64_e32 v[176:177], s[18:19], v[46:47]
	v_fmac_f64_e32 v[184:185], s[14:15], v[48:49]
	;; [unrolled: 1-line block ×3, first 2 shown]
	v_add_f64 v[48:49], v[122:123], v[66:67]
	v_fmac_f64_e32 v[156:157], -0.5, v[48:49]
	v_fma_f64 v[188:189], s[16:17], v[46:47], v[156:157]
	v_fmac_f64_e32 v[156:157], s[6:7], v[46:47]
	v_fmac_f64_e32 v[188:189], s[4:5], v[44:45]
	;; [unrolled: 1-line block ×3, first 2 shown]
	v_add_f64 v[44:45], v[158:159], v[56:57]
	v_add_f64 v[44:45], v[44:45], v[60:61]
	;; [unrolled: 1-line block ×3, first 2 shown]
	v_add_f64 v[48:49], v[58:59], -v[122:123]
	v_add_f64 v[50:51], v[62:63], -v[66:67]
	v_add_f64 v[182:183], v[44:45], v[68:69]
	v_add_f64 v[44:45], v[60:61], v[64:65]
	;; [unrolled: 1-line block ×3, first 2 shown]
	v_fma_f64 v[178:179], -0.5, v[44:45], v[158:159]
	v_add_f64 v[44:45], v[122:123], -v[66:67]
	v_fmac_f64_e32 v[188:189], s[14:15], v[48:49]
	v_fmac_f64_e32 v[156:157], s[14:15], v[48:49]
	v_fma_f64 v[186:187], s[16:17], v[44:45], v[178:179]
	v_add_f64 v[46:47], v[58:59], -v[62:63]
	v_add_f64 v[48:49], v[56:57], -v[60:61]
	;; [unrolled: 1-line block ×3, first 2 shown]
	v_fmac_f64_e32 v[178:179], s[6:7], v[44:45]
	v_fmac_f64_e32 v[186:187], s[18:19], v[46:47]
	v_add_f64 v[48:49], v[48:49], v[50:51]
	v_fmac_f64_e32 v[178:179], s[4:5], v[46:47]
	v_fmac_f64_e32 v[186:187], s[14:15], v[48:49]
	;; [unrolled: 1-line block ×3, first 2 shown]
	v_add_f64 v[48:49], v[56:57], v[68:69]
	v_fmac_f64_e32 v[158:159], -0.5, v[48:49]
	v_fma_f64 v[190:191], s[6:7], v[46:47], v[158:159]
	v_fmac_f64_e32 v[158:159], s[16:17], v[46:47]
	v_fmac_f64_e32 v[190:191], s[18:19], v[44:45]
	;; [unrolled: 1-line block ×3, first 2 shown]
	v_add_f64 v[44:45], v[160:161], v[32:33]
	v_add_f64 v[44:45], v[44:45], v[34:35]
	;; [unrolled: 1-line block ×3, first 2 shown]
	v_add_f64 v[48:49], v[60:61], -v[56:57]
	v_add_f64 v[50:51], v[64:65], -v[68:69]
	v_add_f64 v[196:197], v[44:45], v[70:71]
	v_add_f64 v[44:45], v[34:35], v[36:37]
	v_add_f64 v[48:49], v[48:49], v[50:51]
	v_fma_f64 v[192:193], -0.5, v[44:45], v[160:161]
	v_add_f64 v[44:45], v[0:1], -v[228:229]
	v_fmac_f64_e32 v[190:191], s[14:15], v[48:49]
	v_fmac_f64_e32 v[158:159], s[14:15], v[48:49]
	v_fma_f64 v[200:201], s[6:7], v[44:45], v[192:193]
	v_add_f64 v[46:47], v[2:3], -v[4:5]
	v_add_f64 v[48:49], v[32:33], -v[34:35]
	;; [unrolled: 1-line block ×3, first 2 shown]
	v_fmac_f64_e32 v[192:193], s[16:17], v[44:45]
	v_fmac_f64_e32 v[200:201], s[4:5], v[46:47]
	v_add_f64 v[48:49], v[48:49], v[50:51]
	v_fmac_f64_e32 v[192:193], s[18:19], v[46:47]
	v_fmac_f64_e32 v[200:201], s[14:15], v[48:49]
	;; [unrolled: 1-line block ×3, first 2 shown]
	v_add_f64 v[48:49], v[32:33], v[70:71]
	v_fmac_f64_e32 v[160:161], -0.5, v[48:49]
	v_fma_f64 v[204:205], s[16:17], v[46:47], v[160:161]
	v_fmac_f64_e32 v[160:161], s[6:7], v[46:47]
	v_fmac_f64_e32 v[204:205], s[4:5], v[44:45]
	;; [unrolled: 1-line block ×3, first 2 shown]
	v_add_f64 v[44:45], v[162:163], v[0:1]
	v_add_f64 v[44:45], v[44:45], v[2:3]
	;; [unrolled: 1-line block ×5, first 2 shown]
	v_add_f64 v[48:49], v[34:35], -v[32:33]
	v_fma_f64 v[194:195], -0.5, v[44:45], v[162:163]
	v_add_f64 v[32:33], v[32:33], -v[70:71]
	v_fmac_f64_e32 v[12:13], v[202:203], v[100:101]
	v_add_f64 v[50:51], v[36:37], -v[70:71]
	v_fma_f64 v[202:203], s[16:17], v[32:33], v[194:195]
	v_add_f64 v[34:35], v[34:35], -v[36:37]
	v_add_f64 v[36:37], v[0:1], -v[2:3]
	;; [unrolled: 1-line block ×3, first 2 shown]
	v_fmac_f64_e32 v[194:195], s[6:7], v[32:33]
	v_fmac_f64_e32 v[202:203], s[18:19], v[34:35]
	v_add_f64 v[36:37], v[36:37], v[44:45]
	v_fmac_f64_e32 v[194:195], s[4:5], v[34:35]
	v_fmac_f64_e32 v[202:203], s[14:15], v[36:37]
	;; [unrolled: 1-line block ×3, first 2 shown]
	v_add_f64 v[36:37], v[0:1], v[228:229]
	v_add_f64 v[0:1], v[2:3], -v[0:1]
	v_add_f64 v[2:3], v[4:5], -v[228:229]
	v_fmac_f64_e32 v[162:163], -0.5, v[36:37]
	v_add_f64 v[0:1], v[0:1], v[2:3]
	v_add_f64 v[2:3], v[16:17], v[30:31]
	v_fmac_f64_e32 v[10:11], v[206:207], v[108:109]
	v_mul_f64 v[154:155], v[224:225], v[126:127]
	v_fma_f64 v[206:207], s[6:7], v[34:35], v[162:163]
	v_fmac_f64_e32 v[162:163], s[16:17], v[34:35]
	v_fma_f64 v[224:225], -0.5, v[2:3], v[168:169]
	v_add_f64 v[2:3], v[8:9], -v[14:15]
	v_fmac_f64_e32 v[206:207], s[18:19], v[32:33]
	v_fmac_f64_e32 v[162:163], s[4:5], v[32:33]
	v_fma_f64 v[228:229], s[6:7], v[2:3], v[224:225]
	v_add_f64 v[32:33], v[10:11], -v[12:13]
	v_add_f64 v[4:5], v[6:7], -v[16:17]
	;; [unrolled: 1-line block ×3, first 2 shown]
	v_fmac_f64_e32 v[224:225], s[16:17], v[2:3]
	v_fmac_f64_e32 v[228:229], s[4:5], v[32:33]
	v_add_f64 v[4:5], v[4:5], v[34:35]
	v_fmac_f64_e32 v[224:225], s[18:19], v[32:33]
	v_fmac_f64_e32 v[228:229], s[14:15], v[4:5]
	;; [unrolled: 1-line block ×3, first 2 shown]
	v_add_f64 v[4:5], v[6:7], v[230:231]
	v_fmac_f64_e32 v[206:207], s[14:15], v[0:1]
	v_fmac_f64_e32 v[162:163], s[14:15], v[0:1]
	v_add_f64 v[0:1], v[168:169], v[6:7]
	v_fmac_f64_e32 v[168:169], -0.5, v[4:5]
	v_add_f64 v[0:1], v[0:1], v[16:17]
	v_fma_f64 v[4:5], s[16:17], v[32:33], v[168:169]
	v_fmac_f64_e32 v[168:169], s[6:7], v[32:33]
	v_add_f64 v[32:33], v[10:11], v[12:13]
	v_fmac_f64_e32 v[154:155], v[226:227], v[124:125]
	v_add_f64 v[0:1], v[0:1], v[30:31]
	v_fma_f64 v[226:227], -0.5, v[32:33], v[170:171]
	v_add_f64 v[32:33], v[6:7], -v[230:231]
	v_add_f64 v[0:1], v[0:1], v[230:231]
	v_add_f64 v[34:35], v[16:17], -v[6:7]
	v_add_f64 v[36:37], v[30:31], -v[230:231]
	v_fma_f64 v[230:231], s[16:17], v[32:33], v[226:227]
	v_add_f64 v[16:17], v[16:17], -v[30:31]
	v_add_f64 v[6:7], v[8:9], -v[10:11]
	;; [unrolled: 1-line block ×3, first 2 shown]
	v_fmac_f64_e32 v[226:227], s[6:7], v[32:33]
	v_fmac_f64_e32 v[230:231], s[18:19], v[16:17]
	v_add_f64 v[6:7], v[6:7], v[30:31]
	v_fmac_f64_e32 v[226:227], s[4:5], v[16:17]
	v_fmac_f64_e32 v[230:231], s[14:15], v[6:7]
	v_fmac_f64_e32 v[226:227], s[14:15], v[6:7]
	v_add_f64 v[6:7], v[8:9], v[14:15]
	v_fmac_f64_e32 v[4:5], s[4:5], v[2:3]
	v_fmac_f64_e32 v[168:169], s[18:19], v[2:3]
	v_add_f64 v[2:3], v[170:171], v[8:9]
	v_fmac_f64_e32 v[170:171], -0.5, v[6:7]
	v_add_f64 v[2:3], v[2:3], v[10:11]
	v_fma_f64 v[6:7], s[6:7], v[16:17], v[170:171]
	v_add_f64 v[8:9], v[10:11], -v[8:9]
	v_add_f64 v[10:11], v[12:13], -v[14:15]
	v_fmac_f64_e32 v[170:171], s[16:17], v[16:17]
	v_fma_f64 v[18:19], v[26:27], v[116:117], -v[18:19]
	v_fmac_f64_e32 v[6:7], s[18:19], v[32:33]
	v_add_f64 v[8:9], v[8:9], v[10:11]
	v_fmac_f64_e32 v[170:171], s[4:5], v[32:33]
	v_fmac_f64_e32 v[6:7], s[14:15], v[8:9]
	v_fmac_f64_e32 v[170:171], s[14:15], v[8:9]
	v_add_f64 v[8:9], v[164:165], v[18:19]
	v_add_f64 v[8:9], v[8:9], v[252:253]
	;; [unrolled: 1-line block ×6, first 2 shown]
	v_fma_f64 v[8:9], -0.5, v[8:9], v[164:165]
	v_add_f64 v[10:11], v[152:153], -v[250:251]
	v_add_f64 v[2:3], v[2:3], v[14:15]
	v_fma_f64 v[16:17], s[6:7], v[10:11], v[8:9]
	v_add_f64 v[14:15], v[154:155], -v[248:249]
	v_add_f64 v[30:31], v[18:19], -v[252:253]
	;; [unrolled: 1-line block ×3, first 2 shown]
	v_fmac_f64_e32 v[8:9], s[16:17], v[10:11]
	v_fmac_f64_e32 v[16:17], s[4:5], v[14:15]
	v_add_f64 v[30:31], v[30:31], v[32:33]
	v_fmac_f64_e32 v[8:9], s[18:19], v[14:15]
	v_fmac_f64_e32 v[16:17], s[14:15], v[30:31]
	;; [unrolled: 1-line block ×3, first 2 shown]
	v_add_f64 v[30:31], v[18:19], v[28:29]
	v_fmac_f64_e32 v[164:165], -0.5, v[30:31]
	v_fma_f64 v[30:31], s[16:17], v[14:15], v[164:165]
	v_fmac_f64_e32 v[164:165], s[6:7], v[14:15]
	v_fmac_f64_e32 v[30:31], s[4:5], v[10:11]
	v_fmac_f64_e32 v[164:165], s[18:19], v[10:11]
	v_add_f64 v[10:11], v[166:167], v[152:153]
	v_add_f64 v[10:11], v[10:11], v[154:155]
	;; [unrolled: 1-line block ×4, first 2 shown]
	v_fmac_f64_e32 v[4:5], s[14:15], v[34:35]
	v_fmac_f64_e32 v[168:169], s[14:15], v[34:35]
	v_add_f64 v[32:33], v[252:253], -v[18:19]
	v_add_f64 v[34:35], v[254:255], -v[28:29]
	v_add_f64 v[14:15], v[10:11], v[250:251]
	v_add_f64 v[10:11], v[154:155], v[248:249]
	;; [unrolled: 1-line block ×3, first 2 shown]
	v_fma_f64 v[10:11], -0.5, v[10:11], v[166:167]
	v_add_f64 v[28:29], v[18:19], -v[28:29]
	v_fmac_f64_e32 v[30:31], s[14:15], v[32:33]
	v_fmac_f64_e32 v[164:165], s[14:15], v[32:33]
	v_fma_f64 v[18:19], s[16:17], v[28:29], v[10:11]
	v_add_f64 v[34:35], v[252:253], -v[254:255]
	v_add_f64 v[32:33], v[152:153], -v[154:155]
	v_add_f64 v[36:37], v[250:251], -v[248:249]
	v_fmac_f64_e32 v[10:11], s[6:7], v[28:29]
	v_fmac_f64_e32 v[18:19], s[18:19], v[34:35]
	v_add_f64 v[32:33], v[32:33], v[36:37]
	v_fmac_f64_e32 v[10:11], s[4:5], v[34:35]
	v_fmac_f64_e32 v[18:19], s[14:15], v[32:33]
	;; [unrolled: 1-line block ×3, first 2 shown]
	v_add_f64 v[32:33], v[152:153], v[250:251]
	v_fmac_f64_e32 v[166:167], -0.5, v[32:33]
	v_fma_f64 v[32:33], s[6:7], v[34:35], v[166:167]
	v_fmac_f64_e32 v[166:167], s[16:17], v[34:35]
	v_fmac_f64_e32 v[32:33], s[18:19], v[28:29]
	;; [unrolled: 1-line block ×3, first 2 shown]
	v_add_f64 v[28:29], v[172:173], v[232:233]
	s_waitcnt vmcnt(0) lgkmcnt(0)
	v_mul_f64 v[26:27], v[54:55], v[138:139]
	v_add_f64 v[28:29], v[28:29], v[234:235]
	v_fma_f64 v[238:239], v[52:53], v[136:137], -v[26:27]
	v_mul_f64 v[26:27], v[52:53], v[138:139]
	v_add_f64 v[28:29], v[28:29], v[236:237]
	v_fmac_f64_e32 v[26:27], v[54:55], v[136:137]
	v_add_f64 v[36:37], v[154:155], -v[152:153]
	v_add_f64 v[44:45], v[248:249], -v[250:251]
	v_add_f64 v[34:35], v[28:29], v[238:239]
	v_add_f64 v[28:29], v[234:235], v[236:237]
	;; [unrolled: 1-line block ×4, first 2 shown]
	v_fma_f64 v[152:153], -0.5, v[28:29], v[172:173]
	v_add_f64 v[28:29], v[20:21], -v[26:27]
	v_fmac_f64_e32 v[204:205], s[14:15], v[48:49]
	v_fmac_f64_e32 v[160:161], s[14:15], v[48:49]
	;; [unrolled: 1-line block ×4, first 2 shown]
	v_fma_f64 v[44:45], s[6:7], v[28:29], v[152:153]
	v_add_f64 v[36:37], v[22:23], -v[24:25]
	v_add_f64 v[46:47], v[232:233], -v[234:235]
	;; [unrolled: 1-line block ×3, first 2 shown]
	v_fmac_f64_e32 v[152:153], s[16:17], v[28:29]
	v_fmac_f64_e32 v[44:45], s[4:5], v[36:37]
	v_add_f64 v[46:47], v[46:47], v[48:49]
	v_fmac_f64_e32 v[152:153], s[18:19], v[36:37]
	v_fmac_f64_e32 v[44:45], s[14:15], v[46:47]
	;; [unrolled: 1-line block ×3, first 2 shown]
	v_add_f64 v[46:47], v[232:233], v[238:239]
	v_fmac_f64_e32 v[172:173], -0.5, v[46:47]
	v_fma_f64 v[48:49], s[16:17], v[36:37], v[172:173]
	v_fmac_f64_e32 v[172:173], s[6:7], v[36:37]
	v_fmac_f64_e32 v[48:49], s[4:5], v[28:29]
	;; [unrolled: 1-line block ×3, first 2 shown]
	v_add_f64 v[28:29], v[174:175], v[20:21]
	v_add_f64 v[28:29], v[28:29], v[22:23]
	v_add_f64 v[28:29], v[28:29], v[24:25]
	v_add_f64 v[46:47], v[234:235], -v[232:233]
	v_add_f64 v[50:51], v[236:237], -v[238:239]
	v_add_f64 v[36:37], v[28:29], v[26:27]
	v_add_f64 v[28:29], v[22:23], v[24:25]
	;; [unrolled: 1-line block ×3, first 2 shown]
	v_fma_f64 v[154:155], -0.5, v[28:29], v[174:175]
	v_add_f64 v[28:29], v[232:233], -v[238:239]
	v_fmac_f64_e32 v[48:49], s[14:15], v[46:47]
	v_fmac_f64_e32 v[172:173], s[14:15], v[46:47]
	v_fma_f64 v[46:47], s[16:17], v[28:29], v[154:155]
	v_add_f64 v[52:53], v[234:235], -v[236:237]
	v_add_f64 v[50:51], v[20:21], -v[22:23]
	;; [unrolled: 1-line block ×3, first 2 shown]
	v_fmac_f64_e32 v[154:155], s[6:7], v[28:29]
	v_fmac_f64_e32 v[46:47], s[18:19], v[52:53]
	v_add_f64 v[50:51], v[50:51], v[54:55]
	v_fmac_f64_e32 v[154:155], s[4:5], v[52:53]
	v_fmac_f64_e32 v[46:47], s[14:15], v[50:51]
	;; [unrolled: 1-line block ×3, first 2 shown]
	v_add_f64 v[50:51], v[20:21], v[26:27]
	v_fmac_f64_e32 v[174:175], -0.5, v[50:51]
	v_fma_f64 v[50:51], s[6:7], v[52:53], v[174:175]
	v_add_f64 v[20:21], v[22:23], -v[20:21]
	v_add_f64 v[22:23], v[24:25], -v[26:27]
	v_fmac_f64_e32 v[174:175], s[16:17], v[52:53]
	v_fmac_f64_e32 v[50:51], s[18:19], v[28:29]
	v_add_f64 v[20:21], v[20:21], v[22:23]
	v_fmac_f64_e32 v[174:175], s[4:5], v[28:29]
	v_fmac_f64_e32 v[50:51], s[14:15], v[20:21]
	;; [unrolled: 1-line block ×3, first 2 shown]
	ds_write_b128 v120, v[180:183]
	ds_write_b128 v120, v[184:187] offset:5040
	ds_write_b128 v120, v[188:191] offset:10080
	;; [unrolled: 1-line block ×24, first 2 shown]
	s_movk_i32 s6, 0x6000
	v_accvgpr_read_b32 v34, a0
	v_add_co_u32_e32 v0, vcc, s6, v34
	v_addc_co_u32_e32 v1, vcc, 0, v38, vcc
	s_waitcnt lgkmcnt(0)
	; wave barrier
	s_waitcnt lgkmcnt(0)
	global_load_dwordx4 v[8:11], v[0:1], off offset:624
	s_mov_b32 s4, 0x8000
	v_add_co_u32_e32 v18, vcc, s4, v34
	v_addc_co_u32_e32 v19, vcc, 0, v38, vcc
	global_load_dwordx4 v[4:7], v[18:19], off offset:832
	s_mov_b32 s4, 0xa000
	v_add_co_u32_e32 v20, vcc, s4, v34
	v_addc_co_u32_e32 v21, vcc, 0, v38, vcc
	global_load_dwordx4 v[0:3], v[20:21], off offset:1040
	s_movk_i32 s4, 0x6270
	v_add_co_u32_e32 v16, vcc, s4, v34
	v_addc_co_u32_e32 v17, vcc, 0, v38, vcc
	global_load_dwordx4 v[192:195], v[16:17], off offset:1008
	global_load_dwordx4 v[184:187], v[18:19], off offset:1840
	;; [unrolled: 1-line block ×9, first 2 shown]
	ds_read_b128 v[22:25], v120
	ds_read_b128 v[12:15], v120 offset:1008
	ds_read_b128 v[30:33], v120 offset:8400
	global_load_dwordx4 v[176:179], v[20:21], off offset:4064
	s_mov_b32 s4, 0x9000
	v_add_co_u32_e32 v18, vcc, s4, v34
	v_addc_co_u32_e32 v19, vcc, 0, v38, vcc
	s_mov_b32 s4, 0xb000
	global_load_dwordx4 v[196:199], v[18:19], off offset:768
	v_add_co_u32_e32 v20, vcc, s4, v34
	v_addc_co_u32_e32 v21, vcc, 0, v38, vcc
	s_movk_i32 s4, 0x7000
	global_load_dwordx4 v[200:203], v[20:21], off offset:976
	v_add_co_u32_e32 v56, vcc, s4, v34
	v_addc_co_u32_e32 v57, vcc, 0, v38, vcc
	ds_read_b128 v[34:37], v120 offset:10416
	ds_read_b128 v[52:55], v120 offset:18816
	global_load_dwordx4 v[44:47], v[18:19], off offset:2784
	global_load_dwordx4 v[48:51], v[20:21], off offset:2992
	s_waitcnt vmcnt(16) lgkmcnt(4)
	v_mul_f64 v[26:27], v[24:25], v[10:11]
	v_mul_f64 v[28:29], v[22:23], v[10:11]
	v_fma_f64 v[26:27], v[22:23], v[8:9], -v[26:27]
	v_fmac_f64_e32 v[28:29], v[24:25], v[8:9]
	ds_write_b128 v120, v[26:29]
	ds_read_b128 v[26:29], v120 offset:16800
	ds_read_b128 v[8:11], v120 offset:9408
	s_waitcnt vmcnt(15) lgkmcnt(5)
	v_mul_f64 v[22:23], v[32:33], v[6:7]
	v_mul_f64 v[24:25], v[30:31], v[6:7]
	v_fma_f64 v[22:23], v[30:31], v[4:5], -v[22:23]
	v_fmac_f64_e32 v[24:25], v[32:33], v[4:5]
	ds_write_b128 v120, v[22:25] offset:8400
	ds_read_b128 v[22:25], v120 offset:17808
	s_waitcnt vmcnt(14) lgkmcnt(3)
	v_mul_f64 v[4:5], v[28:29], v[2:3]
	v_mul_f64 v[6:7], v[26:27], v[2:3]
	v_fma_f64 v[4:5], v[26:27], v[0:1], -v[4:5]
	v_fmac_f64_e32 v[6:7], v[28:29], v[0:1]
	ds_write_b128 v120, v[4:7] offset:16800
	s_waitcnt vmcnt(13)
	v_mul_f64 v[4:5], v[14:15], v[194:195]
	v_mul_f64 v[6:7], v[12:13], v[194:195]
	global_load_dwordx4 v[0:3], v[56:57], off offset:1568
	v_fma_f64 v[4:5], v[12:13], v[192:193], -v[4:5]
	v_fmac_f64_e32 v[6:7], v[14:15], v[192:193]
	ds_write_b128 v120, v[4:7] offset:1008
	global_load_dwordx4 v[4:7], v[18:19], off offset:1776
	s_waitcnt vmcnt(14) lgkmcnt(4)
	v_mul_f64 v[12:13], v[10:11], v[186:187]
	v_mul_f64 v[14:15], v[8:9], v[186:187]
	v_fma_f64 v[12:13], v[8:9], v[184:185], -v[12:13]
	v_fmac_f64_e32 v[14:15], v[10:11], v[184:185]
	global_load_dwordx4 v[8:11], v[20:21], off offset:1984
	ds_write_b128 v120, v[12:15] offset:9408
	s_waitcnt vmcnt(14) lgkmcnt(3)
	v_mul_f64 v[12:13], v[24:25], v[182:183]
	v_mul_f64 v[14:15], v[22:23], v[182:183]
	ds_read_b128 v[26:29], v120 offset:2016
	v_fma_f64 v[12:13], v[22:23], v[180:181], -v[12:13]
	v_fmac_f64_e32 v[14:15], v[24:25], v[180:181]
	global_load_dwordx4 v[22:25], v[56:57], off offset:2576
	ds_write_b128 v120, v[12:15] offset:17808
	ds_read_b128 v[12:15], v120 offset:3024
	s_waitcnt vmcnt(14) lgkmcnt(2)
	v_mul_f64 v[30:31], v[28:29], v[174:175]
	v_mul_f64 v[32:33], v[26:27], v[174:175]
	v_fma_f64 v[30:31], v[26:27], v[172:173], -v[30:31]
	v_fmac_f64_e32 v[32:33], v[28:29], v[172:173]
	ds_write_b128 v120, v[30:33] offset:2016
	ds_read_b128 v[26:29], v120 offset:11424
	s_waitcnt vmcnt(13)
	v_mul_f64 v[30:31], v[36:37], v[170:171]
	v_mul_f64 v[32:33], v[34:35], v[170:171]
	v_fma_f64 v[30:31], v[34:35], v[168:169], -v[30:31]
	v_fmac_f64_e32 v[32:33], v[36:37], v[168:169]
	ds_write_b128 v120, v[30:33] offset:10416
	ds_read_b128 v[30:33], v120 offset:19824
	global_load_dwordx4 v[34:37], v[56:57], off offset:3584
	s_waitcnt vmcnt(13)
	v_mul_f64 v[38:39], v[54:55], v[162:163]
	v_mul_f64 v[170:171], v[52:53], v[162:163]
	v_fma_f64 v[168:169], v[52:53], v[160:161], -v[38:39]
	v_fmac_f64_e32 v[170:171], v[54:55], v[160:161]
	global_load_dwordx4 v[52:55], v[18:19], off offset:3792
	s_waitcnt vmcnt(12) lgkmcnt(4)
	v_mul_f64 v[18:19], v[14:15], v[158:159]
	v_fma_f64 v[160:161], v[12:13], v[156:157], -v[18:19]
	global_load_dwordx4 v[18:21], v[20:21], off offset:4000
	v_mul_f64 v[162:163], v[12:13], v[158:159]
	v_fmac_f64_e32 v[162:163], v[14:15], v[156:157]
	s_waitcnt lgkmcnt(2)
	v_mul_f64 v[12:13], v[28:29], v[166:167]
	v_mul_f64 v[14:15], v[26:27], v[166:167]
	v_fma_f64 v[12:13], v[26:27], v[164:165], -v[12:13]
	v_fmac_f64_e32 v[14:15], v[28:29], v[164:165]
	ds_read_b128 v[26:29], v120 offset:4032
	ds_read_b128 v[156:159], v120 offset:12432
	ds_write_b128 v120, v[12:15] offset:11424
	s_waitcnt vmcnt(11) lgkmcnt(3)
	v_mul_f64 v[12:13], v[32:33], v[178:179]
	v_mul_f64 v[14:15], v[30:31], v[178:179]
	ds_write_b128 v120, v[160:163] offset:3024
	v_fma_f64 v[12:13], v[30:31], v[176:177], -v[12:13]
	v_fmac_f64_e32 v[14:15], v[32:33], v[176:177]
	ds_read_b128 v[160:163], v120 offset:20832
	ds_write_b128 v120, v[12:15] offset:19824
	ds_read_b128 v[12:15], v120 offset:5040
	s_waitcnt lgkmcnt(6)
	v_mul_f64 v[30:31], v[28:29], v[190:191]
	v_mul_f64 v[32:33], v[26:27], v[190:191]
	v_fma_f64 v[30:31], v[26:27], v[188:189], -v[30:31]
	v_fmac_f64_e32 v[32:33], v[28:29], v[188:189]
	ds_write_b128 v120, v[30:33] offset:4032
	ds_read_b128 v[26:29], v120 offset:13440
	s_waitcnt vmcnt(10) lgkmcnt(7)
	v_mul_f64 v[30:31], v[158:159], v[198:199]
	v_mul_f64 v[32:33], v[156:157], v[198:199]
	v_fma_f64 v[30:31], v[156:157], v[196:197], -v[30:31]
	v_fmac_f64_e32 v[32:33], v[158:159], v[196:197]
	ds_write_b128 v120, v[30:33] offset:12432
	ds_read_b128 v[30:33], v120 offset:21840
	s_waitcnt vmcnt(9) lgkmcnt(6)
	v_mul_f64 v[38:39], v[162:163], v[202:203]
	v_mul_f64 v[158:159], v[160:161], v[202:203]
	v_fma_f64 v[156:157], v[160:161], v[200:201], -v[38:39]
	v_fmac_f64_e32 v[158:159], v[162:163], v[200:201]
	ds_write_b128 v120, v[156:159] offset:20832
	ds_write_b128 v120, v[168:171] offset:18816
	s_waitcnt vmcnt(6) lgkmcnt(6)
	v_mul_f64 v[38:39], v[14:15], v[2:3]
	v_mul_f64 v[158:159], v[12:13], v[2:3]
	v_fma_f64 v[156:157], v[12:13], v[0:1], -v[38:39]
	v_fmac_f64_e32 v[158:159], v[14:15], v[0:1]
	s_waitcnt vmcnt(5) lgkmcnt(4)
	v_mul_f64 v[0:1], v[28:29], v[6:7]
	v_mul_f64 v[2:3], v[26:27], v[6:7]
	v_fma_f64 v[0:1], v[26:27], v[4:5], -v[0:1]
	v_fmac_f64_e32 v[2:3], v[28:29], v[4:5]
	ds_read_b128 v[4:7], v120 offset:6048
	ds_write_b128 v120, v[0:3] offset:13440
	s_waitcnt vmcnt(4) lgkmcnt(4)
	v_mul_f64 v[0:1], v[32:33], v[10:11]
	v_mul_f64 v[2:3], v[30:31], v[10:11]
	v_fma_f64 v[0:1], v[30:31], v[8:9], -v[0:1]
	v_fmac_f64_e32 v[2:3], v[32:33], v[8:9]
	ds_read_b128 v[12:15], v120 offset:14448
	ds_write_b128 v120, v[0:3] offset:21840
	ds_read_b128 v[0:3], v120 offset:7056
	s_waitcnt vmcnt(3) lgkmcnt(4)
	v_mul_f64 v[8:9], v[6:7], v[24:25]
	v_mul_f64 v[10:11], v[4:5], v[24:25]
	v_fma_f64 v[8:9], v[4:5], v[22:23], -v[8:9]
	v_fmac_f64_e32 v[10:11], v[6:7], v[22:23]
	ds_read_b128 v[4:7], v120 offset:15456
	ds_read_b128 v[22:25], v120 offset:22848
	ds_write_b128 v120, v[8:11] offset:6048
	s_waitcnt lgkmcnt(5)
	v_mul_f64 v[8:9], v[14:15], v[46:47]
	v_mul_f64 v[10:11], v[12:13], v[46:47]
	v_fma_f64 v[8:9], v[12:13], v[44:45], -v[8:9]
	v_fmac_f64_e32 v[10:11], v[14:15], v[44:45]
	ds_write_b128 v120, v[8:11] offset:14448
	ds_read_b128 v[8:11], v120 offset:23856
	s_waitcnt lgkmcnt(3)
	v_mul_f64 v[12:13], v[24:25], v[50:51]
	v_mul_f64 v[14:15], v[22:23], v[50:51]
	v_fma_f64 v[12:13], v[22:23], v[48:49], -v[12:13]
	v_fmac_f64_e32 v[14:15], v[24:25], v[48:49]
	ds_write_b128 v120, v[12:15] offset:22848
	s_waitcnt vmcnt(2)
	v_mul_f64 v[12:13], v[2:3], v[36:37]
	v_mul_f64 v[14:15], v[0:1], v[36:37]
	v_fma_f64 v[12:13], v[0:1], v[34:35], -v[12:13]
	v_fmac_f64_e32 v[14:15], v[2:3], v[34:35]
	s_waitcnt vmcnt(1)
	v_mul_f64 v[0:1], v[6:7], v[54:55]
	v_mul_f64 v[2:3], v[4:5], v[54:55]
	v_fma_f64 v[0:1], v[4:5], v[52:53], -v[0:1]
	v_fmac_f64_e32 v[2:3], v[6:7], v[52:53]
	ds_write_b128 v120, v[0:3] offset:15456
	s_waitcnt vmcnt(0) lgkmcnt(2)
	v_mul_f64 v[0:1], v[10:11], v[20:21]
	v_mul_f64 v[2:3], v[8:9], v[20:21]
	v_fma_f64 v[0:1], v[8:9], v[18:19], -v[0:1]
	v_fmac_f64_e32 v[2:3], v[10:11], v[18:19]
	ds_write_b128 v120, v[156:159] offset:5040
	ds_write_b128 v120, v[12:15] offset:7056
	ds_write_b128 v120, v[0:3] offset:23856
	s_and_saveexec_b64 s[4:5], s[0:1]
	s_cbranch_execz .LBB0_17
; %bb.16:
	v_add_co_u32_e32 v4, vcc, 0x1000, v16
	v_addc_co_u32_e32 v5, vcc, 0, v17, vcc
	global_load_dwordx4 v[4:7], v[4:5], off offset:3968
	ds_read_b128 v[0:3], v120 offset:8064
	s_movk_i32 s7, 0x4000
	s_waitcnt vmcnt(0) lgkmcnt(0)
	v_mul_f64 v[8:9], v[2:3], v[6:7]
	v_mul_f64 v[10:11], v[0:1], v[6:7]
	v_fma_f64 v[8:9], v[0:1], v[4:5], -v[8:9]
	v_fmac_f64_e32 v[10:11], v[2:3], v[4:5]
	v_add_co_u32_e32 v4, vcc, s7, v16
	v_addc_co_u32_e32 v5, vcc, 0, v17, vcc
	global_load_dwordx4 v[4:7], v[4:5], off offset:80
	ds_read_b128 v[0:3], v120 offset:16464
	ds_write_b128 v120, v[8:11] offset:8064
	s_waitcnt vmcnt(0) lgkmcnt(1)
	v_mul_f64 v[8:9], v[2:3], v[6:7]
	v_mul_f64 v[10:11], v[0:1], v[6:7]
	v_fma_f64 v[8:9], v[0:1], v[4:5], -v[8:9]
	v_fmac_f64_e32 v[10:11], v[2:3], v[4:5]
	v_add_co_u32_e32 v4, vcc, s6, v16
	v_addc_co_u32_e32 v5, vcc, 0, v17, vcc
	global_load_dwordx4 v[4:7], v[4:5], off offset:288
	ds_read_b128 v[0:3], v120 offset:24864
	ds_write_b128 v120, v[8:11] offset:16464
	s_waitcnt vmcnt(0) lgkmcnt(1)
	v_mul_f64 v[8:9], v[2:3], v[6:7]
	v_mul_f64 v[10:11], v[0:1], v[6:7]
	v_fma_f64 v[8:9], v[0:1], v[4:5], -v[8:9]
	v_fmac_f64_e32 v[10:11], v[2:3], v[4:5]
	ds_write_b128 v120, v[8:11] offset:24864
.LBB0_17:
	s_or_b64 exec, exec, s[4:5]
	s_waitcnt lgkmcnt(0)
	; wave barrier
	s_waitcnt lgkmcnt(0)
	ds_read_b128 v[188:191], v120
	ds_read_b128 v[184:187], v120 offset:1008
	ds_read_b128 v[16:19], v120 offset:8400
	;; [unrolled: 1-line block ×23, first 2 shown]
	s_and_saveexec_b64 s[4:5], s[0:1]
	s_cbranch_execz .LBB0_19
; %bb.18:
	ds_read_b128 v[152:155], v120 offset:8064
	ds_read_b128 v[144:147], v120 offset:16464
	;; [unrolled: 1-line block ×3, first 2 shown]
.LBB0_19:
	s_or_b64 exec, exec, s[4:5]
	s_waitcnt lgkmcnt(14)
	v_add_f64 v[22:23], v[16:17], v[12:13]
	s_mov_b32 s4, 0xe8584caa
	v_add_f64 v[20:21], v[188:189], v[16:17]
	v_fmac_f64_e32 v[188:189], -0.5, v[22:23]
	v_add_f64 v[22:23], v[18:19], -v[14:15]
	s_mov_b32 s5, 0xbfebb67a
	s_mov_b32 s7, 0x3febb67a
	;; [unrolled: 1-line block ×3, first 2 shown]
	v_fma_f64 v[24:25], s[4:5], v[22:23], v[188:189]
	v_fmac_f64_e32 v[188:189], s[6:7], v[22:23]
	v_add_f64 v[22:23], v[190:191], v[18:19]
	v_add_f64 v[22:23], v[22:23], v[14:15]
	;; [unrolled: 1-line block ×4, first 2 shown]
	v_fmac_f64_e32 v[190:191], -0.5, v[14:15]
	v_add_f64 v[12:13], v[16:17], -v[12:13]
	v_add_f64 v[14:15], v[4:5], v[8:9]
	v_fma_f64 v[26:27], s[6:7], v[12:13], v[190:191]
	v_fmac_f64_e32 v[190:191], s[4:5], v[12:13]
	v_add_f64 v[12:13], v[184:185], v[4:5]
	v_fmac_f64_e32 v[184:185], -0.5, v[14:15]
	v_add_f64 v[14:15], v[6:7], -v[10:11]
	v_fma_f64 v[16:17], s[4:5], v[14:15], v[184:185]
	v_fmac_f64_e32 v[184:185], s[6:7], v[14:15]
	v_add_f64 v[14:15], v[186:187], v[6:7]
	v_add_f64 v[6:7], v[6:7], v[10:11]
	v_fmac_f64_e32 v[186:187], -0.5, v[6:7]
	v_add_f64 v[4:5], v[4:5], -v[8:9]
	s_waitcnt lgkmcnt(13)
	v_add_f64 v[6:7], v[252:253], v[0:1]
	v_fma_f64 v[18:19], s[6:7], v[4:5], v[186:187]
	v_fmac_f64_e32 v[186:187], s[4:5], v[4:5]
	v_add_f64 v[4:5], v[180:181], v[252:253]
	v_fmac_f64_e32 v[180:181], -0.5, v[6:7]
	v_add_f64 v[6:7], v[254:255], -v[2:3]
	v_add_f64 v[12:13], v[12:13], v[8:9]
	v_fma_f64 v[8:9], s[4:5], v[6:7], v[180:181]
	v_fmac_f64_e32 v[180:181], s[6:7], v[6:7]
	v_add_f64 v[6:7], v[182:183], v[254:255]
	v_add_f64 v[6:7], v[6:7], v[2:3]
	;; [unrolled: 1-line block ×4, first 2 shown]
	v_fmac_f64_e32 v[182:183], -0.5, v[2:3]
	v_add_f64 v[0:1], v[252:253], -v[0:1]
	s_waitcnt lgkmcnt(12)
	v_add_f64 v[2:3], v[236:237], v[248:249]
	v_add_f64 v[14:15], v[14:15], v[10:11]
	v_fma_f64 v[10:11], s[6:7], v[0:1], v[182:183]
	v_fmac_f64_e32 v[182:183], s[4:5], v[0:1]
	v_add_f64 v[0:1], v[176:177], v[236:237]
	v_fmac_f64_e32 v[176:177], -0.5, v[2:3]
	v_add_f64 v[2:3], v[238:239], -v[250:251]
	v_add_f64 v[30:31], v[238:239], v[250:251]
	v_fma_f64 v[28:29], s[4:5], v[2:3], v[176:177]
	v_fmac_f64_e32 v[176:177], s[6:7], v[2:3]
	v_add_f64 v[2:3], v[178:179], v[238:239]
	v_fmac_f64_e32 v[178:179], -0.5, v[30:31]
	v_add_f64 v[32:33], v[236:237], -v[248:249]
	s_waitcnt lgkmcnt(7)
	v_add_f64 v[34:35], v[228:229], v[232:233]
	v_fma_f64 v[30:31], s[6:7], v[32:33], v[178:179]
	v_fmac_f64_e32 v[178:179], s[4:5], v[32:33]
	v_add_f64 v[32:33], v[172:173], v[228:229]
	v_fmac_f64_e32 v[172:173], -0.5, v[34:35]
	v_add_f64 v[34:35], v[230:231], -v[234:235]
	v_add_f64 v[38:39], v[230:231], v[234:235]
	v_fma_f64 v[36:37], s[4:5], v[34:35], v[172:173]
	v_fmac_f64_e32 v[172:173], s[6:7], v[34:35]
	v_add_f64 v[34:35], v[174:175], v[230:231]
	v_fmac_f64_e32 v[174:175], -0.5, v[38:39]
	v_add_f64 v[44:45], v[228:229], -v[232:233]
	s_waitcnt lgkmcnt(6)
	;; [unrolled: 13-line block ×3, first 2 shown]
	v_add_f64 v[54:55], v[196:197], v[200:201]
	v_fma_f64 v[50:51], s[6:7], v[52:53], v[170:171]
	v_fmac_f64_e32 v[170:171], s[4:5], v[52:53]
	v_add_f64 v[52:53], v[164:165], v[196:197]
	v_fmac_f64_e32 v[164:165], -0.5, v[54:55]
	v_add_f64 v[54:55], v[198:199], -v[202:203]
	v_add_f64 v[56:57], v[198:199], v[202:203]
	v_fma_f64 v[204:205], s[4:5], v[54:55], v[164:165]
	v_fmac_f64_e32 v[164:165], s[6:7], v[54:55]
	v_add_f64 v[54:55], v[166:167], v[198:199]
	v_fmac_f64_e32 v[166:167], -0.5, v[56:57]
	v_add_f64 v[56:57], v[196:197], -v[200:201]
	v_fma_f64 v[206:207], s[6:7], v[56:57], v[166:167]
	v_fmac_f64_e32 v[166:167], s[4:5], v[56:57]
	v_add_f64 v[56:57], v[160:161], v[156:157]
	s_waitcnt lgkmcnt(0)
	v_add_f64 v[196:197], v[56:57], v[192:193]
	v_add_f64 v[56:57], v[156:157], v[192:193]
	v_fmac_f64_e32 v[160:161], -0.5, v[56:57]
	v_add_f64 v[56:57], v[158:159], -v[194:195]
	v_add_f64 v[52:53], v[52:53], v[200:201]
	v_fma_f64 v[200:201], s[4:5], v[56:57], v[160:161]
	v_fmac_f64_e32 v[160:161], s[6:7], v[56:57]
	v_add_f64 v[56:57], v[162:163], v[158:159]
	v_add_f64 v[198:199], v[56:57], v[194:195]
	;; [unrolled: 1-line block ×3, first 2 shown]
	v_fmac_f64_e32 v[162:163], -0.5, v[56:57]
	v_add_f64 v[56:57], v[156:157], -v[192:193]
	v_add_f64 v[54:55], v[54:55], v[202:203]
	v_fma_f64 v[202:203], s[6:7], v[56:57], v[162:163]
	v_fmac_f64_e32 v[162:163], s[4:5], v[56:57]
	v_add_f64 v[56:57], v[152:153], v[144:145]
	v_add_f64 v[156:157], v[56:57], v[148:149]
	;; [unrolled: 1-line block ×3, first 2 shown]
	v_fmac_f64_e32 v[152:153], -0.5, v[56:57]
	v_add_f64 v[56:57], v[146:147], -v[150:151]
	v_fma_f64 v[192:193], s[4:5], v[56:57], v[152:153]
	v_fmac_f64_e32 v[152:153], s[6:7], v[56:57]
	v_add_f64 v[56:57], v[154:155], v[146:147]
	v_add_f64 v[158:159], v[56:57], v[150:151]
	;; [unrolled: 1-line block ×3, first 2 shown]
	v_fmac_f64_e32 v[154:155], -0.5, v[56:57]
	v_add_f64 v[56:57], v[144:145], -v[148:149]
	v_fma_f64 v[194:195], s[6:7], v[56:57], v[154:155]
	v_fmac_f64_e32 v[154:155], s[4:5], v[56:57]
	s_waitcnt lgkmcnt(0)
	; wave barrier
	buffer_load_dword v56, off, s[40:43], 0 ; 4-byte Folded Reload
	s_waitcnt vmcnt(0)
	ds_write_b128 v56, v[20:23]
	ds_write_b128 v56, v[24:27] offset:16
	ds_write_b128 v56, v[188:191] offset:32
	buffer_load_dword v20, off, s[40:43], 0 offset:4 ; 4-byte Folded Reload
	s_waitcnt vmcnt(0)
	ds_write_b128 v20, v[12:15]
	ds_write_b128 v20, v[16:19] offset:16
	ds_write_b128 v20, v[184:187] offset:32
	buffer_load_dword v12, off, s[40:43], 0 offset:8 ; 4-byte Folded Reload
	s_waitcnt vmcnt(0)
	ds_write_b128 v12, v[4:7]
	ds_write_b128 v12, v[8:11] offset:16
	ds_write_b128 v12, v[180:183] offset:32
	buffer_load_dword v4, off, s[40:43], 0 offset:20 ; 4-byte Folded Reload
	v_add_f64 v[0:1], v[0:1], v[248:249]
	v_add_f64 v[2:3], v[2:3], v[250:251]
	s_waitcnt vmcnt(0)
	ds_write_b128 v4, v[0:3]
	ds_write_b128 v4, v[28:31] offset:16
	ds_write_b128 v4, v[176:179] offset:32
	buffer_load_dword v0, off, s[40:43], 0 offset:12 ; 4-byte Folded Reload
	v_add_f64 v[32:33], v[32:33], v[232:233]
	v_add_f64 v[34:35], v[34:35], v[234:235]
	s_waitcnt vmcnt(0)
	ds_write_b128 v0, v[32:35]
	ds_write_b128 v0, v[36:39] offset:16
	ds_write_b128 v0, v[172:175] offset:32
	buffer_load_dword v0, off, s[40:43], 0 offset:16 ; 4-byte Folded Reload
	;; [unrolled: 7-line block ×3, first 2 shown]
	s_waitcnt vmcnt(0)
	ds_write_b128 v0, v[52:55]
	ds_write_b128 v0, v[204:207] offset:16
	ds_write_b128 v0, v[164:167] offset:32
	buffer_load_dword v0, off, s[40:43], 0 offset:28 ; 4-byte Folded Reload
	s_waitcnt vmcnt(0)
	ds_write_b128 v0, v[196:199]
	ds_write_b128 v0, v[200:203] offset:16
	ds_write_b128 v0, v[160:163] offset:32
	s_and_saveexec_b64 s[4:5], s[0:1]
	s_cbranch_execz .LBB0_21
; %bb.20:
	buffer_load_dword v0, off, s[40:43], 0 offset:424 ; 4-byte Folded Reload
	s_waitcnt vmcnt(0)
	v_lshlrev_b32_e32 v0, 4, v0
	ds_write_b128 v0, v[156:159]
	ds_write_b128 v0, v[192:195] offset:16
	ds_write_b128 v0, v[152:155] offset:32
.LBB0_21:
	s_or_b64 exec, exec, s[4:5]
	s_waitcnt lgkmcnt(0)
	; wave barrier
	s_waitcnt lgkmcnt(0)
	ds_read_b128 v[188:191], v120
	ds_read_b128 v[184:187], v120 offset:1008
	ds_read_b128 v[252:255], v120 offset:8400
	;; [unrolled: 1-line block ×23, first 2 shown]
	s_and_saveexec_b64 s[4:5], s[0:1]
	s_cbranch_execz .LBB0_23
; %bb.22:
	ds_read_b128 v[156:159], v120 offset:8064
	ds_read_b128 v[192:195], v120 offset:16464
	;; [unrolled: 1-line block ×3, first 2 shown]
.LBB0_23:
	s_or_b64 exec, exec, s[4:5]
	v_accvgpr_read_b32 v24, a114
	v_accvgpr_read_b32 v26, a116
	;; [unrolled: 1-line block ×5, first 2 shown]
	s_waitcnt lgkmcnt(14)
	v_mul_f64 v[20:21], v[26:27], v[254:255]
	v_mul_f64 v[22:23], v[26:27], v[252:253]
	v_accvgpr_read_b32 v30, a112
	v_accvgpr_read_b32 v31, a113
	v_accvgpr_read_b32 v32, a122
	v_fmac_f64_e32 v[20:21], v[24:25], v[252:253]
	v_fma_f64 v[22:23], v[24:25], v[254:255], -v[22:23]
	v_accvgpr_read_b32 v29, a111
	v_mul_f64 v[24:25], v[30:31], v[250:251]
	v_mul_f64 v[26:27], v[30:31], v[248:249]
	v_accvgpr_read_b32 v34, a124
	v_accvgpr_read_b32 v35, a125
	v_accvgpr_read_b32 v36, a118
	v_fmac_f64_e32 v[24:25], v[28:29], v[248:249]
	v_fma_f64 v[26:27], v[28:29], v[250:251], -v[26:27]
	v_accvgpr_read_b32 v33, a123
	;; [unrolled: 8-line block ×5, first 2 shown]
	s_waitcnt lgkmcnt(13)
	v_mul_f64 v[44:45], v[50:51], v[226:227]
	v_mul_f64 v[46:47], v[50:51], v[224:225]
	v_accvgpr_read_b32 v54, a140
	v_accvgpr_read_b32 v55, a141
	v_fmac_f64_e32 v[44:45], v[48:49], v[224:225]
	v_fma_f64 v[46:47], v[48:49], v[226:227], -v[46:47]
	v_mul_f64 v[48:49], v[54:55], v[206:207]
	v_mul_f64 v[50:51], v[54:55], v[204:205]
	v_accvgpr_read_b32 v54, a134
	v_accvgpr_read_b32 v53, a139
	;; [unrolled: 1-line block ×4, first 2 shown]
	v_fmac_f64_e32 v[48:49], v[52:53], v[204:205]
	v_fma_f64 v[50:51], v[52:53], v[206:207], -v[50:51]
	v_accvgpr_read_b32 v55, a135
	s_waitcnt lgkmcnt(12)
	v_mul_f64 v[52:53], v[56:57], v[14:15]
	v_accvgpr_read_b32 v58, a146
	v_accvgpr_read_b32 v62, a142
	v_fmac_f64_e32 v[52:53], v[54:55], v[12:13]
	v_mul_f64 v[12:13], v[56:57], v[12:13]
	v_accvgpr_read_b32 v60, a148
	v_accvgpr_read_b32 v61, a149
	v_accvgpr_read_b32 v64, a144
	v_accvgpr_read_b32 v65, a145
	v_fma_f64 v[54:55], v[54:55], v[14:15], -v[12:13]
	v_accvgpr_read_b32 v59, a147
	s_waitcnt lgkmcnt(9)
	v_mul_f64 v[56:57], v[60:61], v[202:203]
	v_mul_f64 v[12:13], v[60:61], v[200:201]
	v_accvgpr_read_b32 v63, a143
	s_waitcnt lgkmcnt(7)
	v_mul_f64 v[60:61], v[64:65], v[18:19]
	v_fmac_f64_e32 v[56:57], v[58:59], v[200:201]
	v_fma_f64 v[58:59], v[58:59], v[202:203], -v[12:13]
	v_fmac_f64_e32 v[60:61], v[62:63], v[16:17]
	v_mul_f64 v[12:13], v[64:65], v[16:17]
	v_accvgpr_read_b32 v14, a154
	v_accvgpr_read_b32 v16, a156
	;; [unrolled: 1-line block ×3, first 2 shown]
	v_fma_f64 v[62:63], v[62:63], v[18:19], -v[12:13]
	v_accvgpr_read_b32 v15, a155
	v_mul_f64 v[64:65], v[16:17], v[198:199]
	v_mul_f64 v[12:13], v[16:17], v[196:197]
	v_fmac_f64_e32 v[64:65], v[14:15], v[196:197]
	v_fma_f64 v[66:67], v[14:15], v[198:199], -v[12:13]
	v_accvgpr_read_b32 v14, a150
	v_accvgpr_read_b32 v16, a152
	v_accvgpr_read_b32 v17, a153
	v_accvgpr_read_b32 v15, a151
	s_waitcnt lgkmcnt(6)
	v_mul_f64 v[68:69], v[16:17], v[146:147]
	v_mul_f64 v[12:13], v[16:17], v[144:145]
	v_fmac_f64_e32 v[68:69], v[14:15], v[144:145]
	v_fma_f64 v[70:71], v[14:15], v[146:147], -v[12:13]
	v_accvgpr_read_b32 v14, a162
	v_accvgpr_read_b32 v16, a164
	v_accvgpr_read_b32 v17, a165
	v_accvgpr_read_b32 v15, a163
	s_waitcnt lgkmcnt(3)
	;; [unrolled: 9-line block ×3, first 2 shown]
	v_mul_f64 v[146:147], v[14:15], v[10:11]
	v_fmac_f64_e32 v[146:147], v[12:13], v[8:9]
	v_mul_f64 v[8:9], v[14:15], v[8:9]
	v_fma_f64 v[148:149], v[12:13], v[10:11], -v[8:9]
	v_accvgpr_read_b32 v8, a170
	v_accvgpr_read_b32 v10, a172
	;; [unrolled: 1-line block ×4, first 2 shown]
	v_mul_f64 v[16:17], v[10:11], v[6:7]
	v_fmac_f64_e32 v[16:17], v[8:9], v[4:5]
	v_mul_f64 v[4:5], v[10:11], v[4:5]
	v_fma_f64 v[150:151], v[8:9], v[6:7], -v[4:5]
	v_accvgpr_read_b32 v4, a166
	v_accvgpr_read_b32 v6, a168
	;; [unrolled: 1-line block ×4, first 2 shown]
	s_waitcnt lgkmcnt(0)
	v_mul_f64 v[226:227], v[6:7], v[2:3]
	v_fmac_f64_e32 v[226:227], v[4:5], v[0:1]
	v_mul_f64 v[0:1], v[6:7], v[0:1]
	v_fma_f64 v[228:229], v[4:5], v[2:3], -v[0:1]
	v_accvgpr_read_b32 v2, a178
	v_accvgpr_read_b32 v4, a180
	v_accvgpr_read_b32 v5, a181
	v_accvgpr_read_b32 v3, a179
	v_mul_f64 v[8:9], v[4:5], v[194:195]
	v_mul_f64 v[0:1], v[4:5], v[192:193]
	v_fmac_f64_e32 v[8:9], v[2:3], v[192:193]
	v_fma_f64 v[12:13], v[2:3], v[194:195], -v[0:1]
	v_accvgpr_read_b32 v2, a174
	v_accvgpr_read_b32 v4, a176
	;; [unrolled: 1-line block ×4, first 2 shown]
	v_mul_f64 v[10:11], v[4:5], v[154:155]
	v_mul_f64 v[0:1], v[4:5], v[152:153]
	v_fmac_f64_e32 v[10:11], v[2:3], v[152:153]
	v_fma_f64 v[14:15], v[2:3], v[154:155], -v[0:1]
	v_add_f64 v[2:3], v[20:21], v[24:25]
	s_mov_b32 s4, 0xe8584caa
	v_add_f64 v[0:1], v[188:189], v[20:21]
	v_fmac_f64_e32 v[188:189], -0.5, v[2:3]
	v_add_f64 v[2:3], v[22:23], -v[26:27]
	s_mov_b32 s5, 0xbfebb67a
	s_mov_b32 s6, s4
	v_add_f64 v[6:7], v[22:23], v[26:27]
	v_fma_f64 v[4:5], s[4:5], v[2:3], v[188:189]
	v_fmac_f64_e32 v[188:189], s[6:7], v[2:3]
	v_add_f64 v[2:3], v[190:191], v[22:23]
	v_fmac_f64_e32 v[190:191], -0.5, v[6:7]
	v_add_f64 v[18:19], v[20:21], -v[24:25]
	v_add_f64 v[20:21], v[28:29], v[32:33]
	v_add_f64 v[0:1], v[0:1], v[24:25]
	v_fma_f64 v[6:7], s[6:7], v[18:19], v[190:191]
	v_fmac_f64_e32 v[190:191], s[4:5], v[18:19]
	v_add_f64 v[18:19], v[184:185], v[28:29]
	v_fmac_f64_e32 v[184:185], -0.5, v[20:21]
	v_add_f64 v[20:21], v[30:31], -v[34:35]
	v_add_f64 v[24:25], v[30:31], v[34:35]
	;; [unrolled: 7-line block ×5, first 2 shown]
	v_fma_f64 v[32:33], s[6:7], v[34:35], v[182:183]
	v_fmac_f64_e32 v[182:183], s[4:5], v[34:35]
	v_add_f64 v[34:35], v[176:177], v[48:49]
	v_fmac_f64_e32 v[176:177], -0.5, v[36:37]
	v_add_f64 v[36:37], v[50:51], -v[54:55]
	v_add_f64 v[38:39], v[50:51], v[54:55]
	v_add_f64 v[26:27], v[26:27], v[44:45]
	v_fma_f64 v[44:45], s[4:5], v[36:37], v[176:177]
	v_fmac_f64_e32 v[176:177], s[6:7], v[36:37]
	v_add_f64 v[36:37], v[178:179], v[50:51]
	v_fmac_f64_e32 v[178:179], -0.5, v[38:39]
	v_add_f64 v[38:39], v[48:49], -v[52:53]
	v_add_f64 v[28:29], v[28:29], v[46:47]
	v_fma_f64 v[46:47], s[6:7], v[38:39], v[178:179]
	v_fmac_f64_e32 v[178:179], s[4:5], v[38:39]
	v_add_f64 v[38:39], v[172:173], v[56:57]
	v_add_f64 v[48:49], v[38:39], v[60:61]
	v_add_f64 v[38:39], v[56:57], v[60:61]
	v_fmac_f64_e32 v[172:173], -0.5, v[38:39]
	v_add_f64 v[38:39], v[58:59], -v[62:63]
	v_add_f64 v[34:35], v[34:35], v[52:53]
	v_fma_f64 v[52:53], s[4:5], v[38:39], v[172:173]
	v_fmac_f64_e32 v[172:173], s[6:7], v[38:39]
	v_add_f64 v[38:39], v[174:175], v[58:59]
	v_add_f64 v[50:51], v[38:39], v[62:63]
	;; [unrolled: 8-line block ×3, first 2 shown]
	v_add_f64 v[38:39], v[64:65], v[68:69]
	v_fmac_f64_e32 v[168:169], -0.5, v[38:39]
	v_add_f64 v[38:39], v[66:67], -v[70:71]
	v_fma_f64 v[192:193], s[4:5], v[38:39], v[168:169]
	v_fmac_f64_e32 v[168:169], s[6:7], v[38:39]
	v_add_f64 v[38:39], v[170:171], v[66:67]
	v_add_f64 v[154:155], v[38:39], v[70:71]
	v_add_f64 v[38:39], v[66:67], v[70:71]
	v_fmac_f64_e32 v[170:171], -0.5, v[38:39]
	v_add_f64 v[38:39], v[64:65], -v[68:69]
	v_fma_f64 v[194:195], s[6:7], v[38:39], v[170:171]
	v_fmac_f64_e32 v[170:171], s[4:5], v[38:39]
	v_add_f64 v[38:39], v[164:165], v[122:123]
	v_add_f64 v[196:197], v[38:39], v[146:147]
	;; [unrolled: 7-line block ×5, first 2 shown]
	v_add_f64 v[38:39], v[150:151], v[228:229]
	v_fmac_f64_e32 v[162:163], -0.5, v[38:39]
	v_add_f64 v[16:17], v[16:17], -v[226:227]
	v_fma_f64 v[226:227], s[6:7], v[16:17], v[162:163]
	v_fmac_f64_e32 v[162:163], s[4:5], v[16:17]
	v_add_f64 v[16:17], v[8:9], v[10:11]
	v_fma_f64 v[148:149], -0.5, v[16:17], v[156:157]
	v_add_f64 v[16:17], v[12:13], -v[14:15]
	v_fma_f64 v[144:145], s[4:5], v[16:17], v[148:149]
	v_fmac_f64_e32 v[148:149], s[6:7], v[16:17]
	v_add_f64 v[16:17], v[12:13], v[14:15]
	v_fma_f64 v[150:151], -0.5, v[16:17], v[158:159]
	v_add_f64 v[16:17], v[8:9], -v[10:11]
	v_fma_f64 v[146:147], s[6:7], v[16:17], v[150:151]
	v_fmac_f64_e32 v[150:151], s[4:5], v[16:17]
	s_waitcnt lgkmcnt(0)
	; wave barrier
	buffer_load_dword v16, off, s[40:43], 0 offset:36 ; 4-byte Folded Reload
	s_waitcnt vmcnt(0)
	ds_write_b128 v16, v[0:3]
	ds_write_b128 v16, v[4:7] offset:48
	ds_write_b128 v16, v[188:191] offset:96
	buffer_load_dword v0, off, s[40:43], 0 offset:40 ; 4-byte Folded Reload
	s_waitcnt vmcnt(0)
	ds_write_b128 v0, v[18:21]
	ds_write_b128 v0, v[22:25] offset:48
	ds_write_b128 v0, v[184:187] offset:96
	buffer_load_dword v0, off, s[40:43], 0 offset:44 ; 4-byte Folded Reload
	s_waitcnt vmcnt(0)
	ds_write_b128 v0, v[26:29]
	ds_write_b128 v0, v[30:33] offset:48
	ds_write_b128 v0, v[180:183] offset:96
	buffer_load_dword v0, off, s[40:43], 0 offset:32 ; 4-byte Folded Reload
	s_waitcnt vmcnt(0)
	ds_write_b128 v0, v[34:37]
	ds_write_b128 v0, v[44:47] offset:48
	ds_write_b128 v0, v[176:179] offset:96
	buffer_load_dword v0, off, s[40:43], 0 offset:148 ; 4-byte Folded Reload
	s_waitcnt vmcnt(0)
	ds_write_b128 v0, v[48:51]
	ds_write_b128 v0, v[52:55] offset:48
	ds_write_b128 v0, v[172:175] offset:96
	buffer_load_dword v0, off, s[40:43], 0 offset:152 ; 4-byte Folded Reload
	s_waitcnt vmcnt(0)
	ds_write_b128 v0, v[152:155]
	ds_write_b128 v0, v[192:195] offset:48
	ds_write_b128 v0, v[168:171] offset:96
	buffer_load_dword v0, off, s[40:43], 0 offset:156 ; 4-byte Folded Reload
	s_waitcnt vmcnt(0)
	ds_write_b128 v0, v[196:199]
	ds_write_b128 v0, v[200:203] offset:48
	ds_write_b128 v0, v[164:167] offset:96
	buffer_load_dword v0, off, s[40:43], 0 offset:48 ; 4-byte Folded Reload
	s_waitcnt vmcnt(0)
	ds_write_b128 v0, v[204:207]
	ds_write_b128 v0, v[224:227] offset:48
	ds_write_b128 v0, v[160:163] offset:96
	s_and_saveexec_b64 s[4:5], s[0:1]
	s_cbranch_execz .LBB0_25
; %bb.24:
	v_add_f64 v[0:1], v[158:159], v[12:13]
	v_add_f64 v[2:3], v[0:1], v[14:15]
	;; [unrolled: 1-line block ×3, first 2 shown]
	v_accvgpr_read_b32 v4, a190
	v_add_f64 v[0:1], v[0:1], v[10:11]
	v_lshlrev_b32_e32 v4, 4, v4
	ds_write_b128 v4, v[0:3]
	ds_write_b128 v4, v[144:147] offset:48
	ds_write_b128 v4, v[148:151] offset:96
.LBB0_25:
	s_or_b64 exec, exec, s[4:5]
	v_accvgpr_read_b32 v58, a204
	v_accvgpr_read_b32 v60, a206
	;; [unrolled: 1-line block ×3, first 2 shown]
	s_waitcnt lgkmcnt(0)
	; wave barrier
	s_waitcnt lgkmcnt(0)
	ds_read_b128 v[156:159], v120
	ds_read_b128 v[160:163], v120 offset:1008
	ds_read_b128 v[0:3], v120 offset:10080
	;; [unrolled: 1-line block ×24, first 2 shown]
	v_accvgpr_read_b32 v59, a205
	s_waitcnt lgkmcnt(8)
	v_mul_f64 v[56:57], v[60:61], v[54:55]
	v_fmac_f64_e32 v[56:57], v[58:59], v[52:53]
	v_mul_f64 v[52:53], v[60:61], v[52:53]
	v_fma_f64 v[52:53], v[58:59], v[54:55], -v[52:53]
	v_accvgpr_read_b32 v58, a200
	v_accvgpr_read_b32 v60, a202
	;; [unrolled: 1-line block ×4, first 2 shown]
	v_mul_f64 v[54:55], v[60:61], v[2:3]
	v_accvgpr_read_b32 v62, a196
	v_fmac_f64_e32 v[54:55], v[58:59], v[0:1]
	v_mul_f64 v[0:1], v[60:61], v[0:1]
	v_accvgpr_read_b32 v64, a198
	v_accvgpr_read_b32 v65, a199
	;; [unrolled: 1-line block ×3, first 2 shown]
	v_fma_f64 v[58:59], v[58:59], v[2:3], -v[0:1]
	v_accvgpr_read_b32 v63, a197
	s_waitcnt lgkmcnt(4)
	v_mul_f64 v[60:61], v[64:65], v[182:183]
	v_mul_f64 v[0:1], v[64:65], v[180:181]
	v_accvgpr_read_b32 v68, a194
	v_accvgpr_read_b32 v69, a195
	v_fmac_f64_e32 v[60:61], v[62:63], v[180:181]
	v_fma_f64 v[62:63], v[62:63], v[182:183], -v[0:1]
	v_accvgpr_read_b32 v67, a193
	v_mul_f64 v[64:65], v[68:69], v[10:11]
	v_mul_f64 v[0:1], v[68:69], v[8:9]
	v_fmac_f64_e32 v[64:65], v[66:67], v[8:9]
	v_fma_f64 v[66:67], v[66:67], v[10:11], -v[0:1]
	v_accvgpr_read_b32 v8, a228
	v_accvgpr_read_b32 v10, a230
	;; [unrolled: 1-line block ×4, first 2 shown]
	v_mul_f64 v[68:69], v[10:11], v[18:19]
	v_mul_f64 v[0:1], v[10:11], v[16:17]
	v_fmac_f64_e32 v[68:69], v[8:9], v[16:17]
	v_fma_f64 v[200:201], v[8:9], v[18:19], -v[0:1]
	v_accvgpr_read_b32 v8, a216
	v_accvgpr_read_b32 v10, a218
	;; [unrolled: 1-line block ×4, first 2 shown]
	v_mul_f64 v[70:71], v[10:11], v[6:7]
	v_fmac_f64_e32 v[70:71], v[8:9], v[4:5]
	v_mul_f64 v[0:1], v[10:11], v[4:5]
	v_accvgpr_read_b32 v2, a224
	v_accvgpr_read_b32 v4, a226
	;; [unrolled: 1-line block ×3, first 2 shown]
	v_fma_f64 v[202:203], v[8:9], v[6:7], -v[0:1]
	v_accvgpr_read_b32 v3, a225
	v_mul_f64 v[122:123], v[4:5], v[26:27]
	v_mul_f64 v[0:1], v[4:5], v[24:25]
	v_fmac_f64_e32 v[122:123], v[2:3], v[24:25]
	v_fma_f64 v[204:205], v[2:3], v[26:27], -v[0:1]
	v_accvgpr_read_b32 v2, a212
	v_accvgpr_read_b32 v4, a214
	v_accvgpr_read_b32 v5, a215
	v_accvgpr_read_b32 v3, a213
	v_mul_f64 v[224:225], v[4:5], v[14:15]
	v_mul_f64 v[0:1], v[4:5], v[12:13]
	v_fmac_f64_e32 v[224:225], v[2:3], v[12:13]
	v_fma_f64 v[206:207], v[2:3], v[14:15], -v[0:1]
	v_accvgpr_read_b32 v2, a220
	v_accvgpr_read_b32 v4, a222
	v_accvgpr_read_b32 v5, a223
	;; [unrolled: 8-line block ×6, first 2 shown]
	v_mul_f64 v[22:23], v[4:5], v[174:175]
	v_mul_f64 v[0:1], v[4:5], v[172:173]
	v_accvgpr_read_b32 v4, a248
	v_accvgpr_read_b32 v3, a103
	;; [unrolled: 1-line block ×4, first 2 shown]
	v_fmac_f64_e32 v[22:23], v[2:3], v[172:173]
	v_fma_f64 v[0:1], v[2:3], v[174:175], -v[0:1]
	v_mul_f64 v[28:29], v[6:7], v[38:39]
	v_mul_f64 v[2:3], v[6:7], v[36:37]
	v_accvgpr_read_b32 v6, a60
	v_accvgpr_read_b32 v5, a249
	;; [unrolled: 1-line block ×4, first 2 shown]
	v_fmac_f64_e32 v[28:29], v[4:5], v[36:37]
	v_fma_f64 v[4:5], v[4:5], v[38:39], -v[2:3]
	s_waitcnt lgkmcnt(2)
	v_mul_f64 v[30:31], v[8:9], v[190:191]
	v_mul_f64 v[2:3], v[8:9], v[188:189]
	v_accvgpr_read_b32 v8, a74
	v_accvgpr_read_b32 v7, a61
	;; [unrolled: 1-line block ×5, first 2 shown]
	v_fmac_f64_e32 v[30:31], v[6:7], v[188:189]
	v_fma_f64 v[6:7], v[6:7], v[190:191], -v[2:3]
	v_accvgpr_read_b32 v9, a75
	v_mul_f64 v[238:239], v[10:11], v[50:51]
	v_mul_f64 v[2:3], v[10:11], v[48:49]
	v_accvgpr_read_b32 v14, a80
	v_accvgpr_read_b32 v15, a81
	;; [unrolled: 1-line block ×3, first 2 shown]
	v_fmac_f64_e32 v[238:239], v[8:9], v[48:49]
	v_fma_f64 v[8:9], v[8:9], v[50:51], -v[2:3]
	v_accvgpr_read_b32 v13, a79
	v_mul_f64 v[2:3], v[14:15], v[178:179]
	v_mul_f64 v[10:11], v[14:15], v[176:177]
	v_accvgpr_read_b32 v34, a18
	v_fmac_f64_e32 v[2:3], v[12:13], v[176:177]
	v_fma_f64 v[24:25], v[12:13], v[178:179], -v[10:11]
	v_accvgpr_read_b32 v33, a17
	v_accvgpr_read_b32 v32, a16
	v_mul_f64 v[10:11], v[34:35], v[186:187]
	v_mul_f64 v[12:13], v[34:35], v[184:185]
	v_fmac_f64_e32 v[10:11], v[32:33], v[184:185]
	v_fma_f64 v[26:27], v[32:33], v[186:187], -v[12:13]
	v_accvgpr_read_b32 v32, a48
	v_accvgpr_read_b32 v34, a50
	;; [unrolled: 1-line block ×4, first 2 shown]
	s_waitcnt lgkmcnt(1)
	v_mul_f64 v[252:253], v[34:35], v[194:195]
	v_mul_f64 v[12:13], v[34:35], v[192:193]
	v_fmac_f64_e32 v[252:253], v[32:33], v[192:193]
	v_fma_f64 v[248:249], v[32:33], v[194:195], -v[12:13]
	v_accvgpr_read_b32 v32, a64
	v_accvgpr_read_b32 v34, a66
	;; [unrolled: 1-line block ×4, first 2 shown]
	s_waitcnt lgkmcnt(0)
	v_mul_f64 v[12:13], v[34:35], v[196:197]
	v_fma_f64 v[250:251], v[32:33], v[198:199], -v[12:13]
	v_add_f64 v[12:13], v[156:157], v[56:57]
	v_add_f64 v[12:13], v[12:13], v[54:55]
	;; [unrolled: 1-line block ×5, first 2 shown]
	s_mov_b32 s6, 0x134454ff
	v_mul_f64 v[254:255], v[34:35], v[198:199]
	v_fma_f64 v[12:13], -0.5, v[12:13], v[156:157]
	v_add_f64 v[14:15], v[52:53], -v[66:67]
	s_mov_b32 s7, 0xbfee6f0e
	s_mov_b32 s4, 0x4755a5e
	;; [unrolled: 1-line block ×4, first 2 shown]
	v_fmac_f64_e32 v[254:255], v[32:33], v[196:197]
	v_fma_f64 v[176:177], s[6:7], v[14:15], v[12:13]
	v_add_f64 v[32:33], v[58:59], -v[62:63]
	s_mov_b32 s5, 0xbfe2cf23
	v_add_f64 v[34:35], v[56:57], -v[54:55]
	v_add_f64 v[36:37], v[64:65], -v[60:61]
	v_fmac_f64_e32 v[12:13], s[16:17], v[14:15]
	s_mov_b32 s19, 0x3fe2cf23
	s_mov_b32 s18, s4
	v_fmac_f64_e32 v[176:177], s[4:5], v[32:33]
	v_add_f64 v[34:35], v[34:35], v[36:37]
	v_fmac_f64_e32 v[12:13], s[18:19], v[32:33]
	v_fmac_f64_e32 v[176:177], s[14:15], v[34:35]
	v_fmac_f64_e32 v[12:13], s[14:15], v[34:35]
	v_add_f64 v[34:35], v[56:57], v[64:65]
	v_fmac_f64_e32 v[156:157], -0.5, v[34:35]
	v_fma_f64 v[180:181], s[16:17], v[32:33], v[156:157]
	v_fmac_f64_e32 v[156:157], s[6:7], v[32:33]
	v_fmac_f64_e32 v[180:181], s[4:5], v[14:15]
	v_fmac_f64_e32 v[156:157], s[18:19], v[14:15]
	v_add_f64 v[14:15], v[158:159], v[52:53]
	v_add_f64 v[14:15], v[14:15], v[58:59]
	v_add_f64 v[14:15], v[14:15], v[62:63]
	v_add_f64 v[34:35], v[54:55], -v[56:57]
	v_add_f64 v[36:37], v[60:61], -v[64:65]
	v_add_f64 v[174:175], v[14:15], v[66:67]
	v_add_f64 v[14:15], v[58:59], v[62:63]
	v_add_f64 v[34:35], v[34:35], v[36:37]
	v_fma_f64 v[14:15], -0.5, v[14:15], v[158:159]
	v_add_f64 v[32:33], v[56:57], -v[64:65]
	v_fmac_f64_e32 v[180:181], s[14:15], v[34:35]
	v_fmac_f64_e32 v[156:157], s[14:15], v[34:35]
	v_fma_f64 v[178:179], s[16:17], v[32:33], v[14:15]
	v_add_f64 v[34:35], v[54:55], -v[60:61]
	v_add_f64 v[36:37], v[52:53], -v[58:59]
	v_add_f64 v[38:39], v[66:67], -v[62:63]
	v_fmac_f64_e32 v[14:15], s[6:7], v[32:33]
	v_fmac_f64_e32 v[178:179], s[18:19], v[34:35]
	v_add_f64 v[36:37], v[36:37], v[38:39]
	v_fmac_f64_e32 v[14:15], s[4:5], v[34:35]
	v_fmac_f64_e32 v[178:179], s[14:15], v[36:37]
	v_fmac_f64_e32 v[14:15], s[14:15], v[36:37]
	v_add_f64 v[36:37], v[52:53], v[66:67]
	v_fmac_f64_e32 v[158:159], -0.5, v[36:37]
	v_fma_f64 v[182:183], s[6:7], v[34:35], v[158:159]
	v_fmac_f64_e32 v[158:159], s[16:17], v[34:35]
	v_fmac_f64_e32 v[182:183], s[18:19], v[32:33]
	v_fmac_f64_e32 v[158:159], s[4:5], v[32:33]
	v_add_f64 v[32:33], v[160:161], v[68:69]
	v_add_f64 v[32:33], v[32:33], v[70:71]
	v_add_f64 v[32:33], v[32:33], v[122:123]
	v_add_f64 v[36:37], v[58:59], -v[52:53]
	v_add_f64 v[38:39], v[62:63], -v[66:67]
	v_add_f64 v[188:189], v[32:33], v[224:225]
	v_add_f64 v[32:33], v[70:71], v[122:123]
	v_add_f64 v[36:37], v[36:37], v[38:39]
	v_fma_f64 v[184:185], -0.5, v[32:33], v[160:161]
	v_add_f64 v[32:33], v[200:201], -v[206:207]
	v_fmac_f64_e32 v[182:183], s[14:15], v[36:37]
	v_fmac_f64_e32 v[158:159], s[14:15], v[36:37]
	v_fma_f64 v[192:193], s[6:7], v[32:33], v[184:185]
	v_add_f64 v[34:35], v[202:203], -v[204:205]
	v_add_f64 v[36:37], v[68:69], -v[70:71]
	v_add_f64 v[38:39], v[224:225], -v[122:123]
	v_fmac_f64_e32 v[184:185], s[16:17], v[32:33]
	;; [unrolled: 28-line block ×5, first 2 shown]
	v_fmac_f64_e32 v[226:227], s[18:19], v[34:35]
	v_add_f64 v[36:37], v[36:37], v[38:39]
	v_fmac_f64_e32 v[202:203], s[4:5], v[34:35]
	v_fmac_f64_e32 v[226:227], s[14:15], v[36:37]
	;; [unrolled: 1-line block ×3, first 2 shown]
	v_add_f64 v[36:37], v[16:17], v[232:233]
	v_fmac_f64_e32 v[170:171], -0.5, v[36:37]
	v_fma_f64 v[230:231], s[6:7], v[34:35], v[170:171]
	v_add_f64 v[16:17], v[18:19], -v[16:17]
	v_add_f64 v[18:19], v[20:21], -v[232:233]
	v_fmac_f64_e32 v[170:171], s[16:17], v[34:35]
	v_fmac_f64_e32 v[230:231], s[18:19], v[32:33]
	v_add_f64 v[16:17], v[16:17], v[18:19]
	v_fmac_f64_e32 v[170:171], s[4:5], v[32:33]
	v_fmac_f64_e32 v[230:231], s[14:15], v[16:17]
	;; [unrolled: 1-line block ×3, first 2 shown]
	v_add_f64 v[16:17], v[164:165], v[22:23]
	v_add_f64 v[16:17], v[16:17], v[28:29]
	;; [unrolled: 1-line block ×5, first 2 shown]
	v_fma_f64 v[16:17], -0.5, v[16:17], v[164:165]
	v_add_f64 v[18:19], v[0:1], -v[8:9]
	v_fma_f64 v[236:237], s[6:7], v[18:19], v[16:17]
	v_add_f64 v[32:33], v[4:5], -v[6:7]
	v_add_f64 v[20:21], v[22:23], -v[28:29]
	;; [unrolled: 1-line block ×3, first 2 shown]
	v_fmac_f64_e32 v[16:17], s[16:17], v[18:19]
	v_fmac_f64_e32 v[236:237], s[4:5], v[32:33]
	v_add_f64 v[20:21], v[20:21], v[34:35]
	v_fmac_f64_e32 v[16:17], s[18:19], v[32:33]
	v_fmac_f64_e32 v[236:237], s[14:15], v[20:21]
	;; [unrolled: 1-line block ×3, first 2 shown]
	v_add_f64 v[20:21], v[22:23], v[238:239]
	v_fmac_f64_e32 v[164:165], -0.5, v[20:21]
	v_fma_f64 v[20:21], s[16:17], v[32:33], v[164:165]
	v_fmac_f64_e32 v[164:165], s[6:7], v[32:33]
	v_fmac_f64_e32 v[20:21], s[4:5], v[18:19]
	;; [unrolled: 1-line block ×3, first 2 shown]
	v_add_f64 v[18:19], v[166:167], v[0:1]
	v_add_f64 v[18:19], v[18:19], v[4:5]
	;; [unrolled: 1-line block ×5, first 2 shown]
	v_fma_f64 v[18:19], -0.5, v[18:19], v[166:167]
	v_add_f64 v[32:33], v[22:23], -v[238:239]
	v_add_f64 v[34:35], v[28:29], -v[22:23]
	;; [unrolled: 1-line block ×3, first 2 shown]
	v_fma_f64 v[238:239], s[16:17], v[32:33], v[18:19]
	v_add_f64 v[28:29], v[28:29], -v[30:31]
	v_add_f64 v[22:23], v[0:1], -v[4:5]
	v_add_f64 v[30:31], v[8:9], -v[6:7]
	v_fmac_f64_e32 v[18:19], s[6:7], v[32:33]
	v_fmac_f64_e32 v[238:239], s[18:19], v[28:29]
	v_add_f64 v[22:23], v[22:23], v[30:31]
	v_fmac_f64_e32 v[18:19], s[4:5], v[28:29]
	v_fmac_f64_e32 v[238:239], s[14:15], v[22:23]
	;; [unrolled: 1-line block ×3, first 2 shown]
	v_add_f64 v[22:23], v[0:1], v[8:9]
	v_fmac_f64_e32 v[166:167], -0.5, v[22:23]
	v_fma_f64 v[22:23], s[6:7], v[28:29], v[166:167]
	v_add_f64 v[0:1], v[4:5], -v[0:1]
	v_add_f64 v[4:5], v[6:7], -v[8:9]
	v_fmac_f64_e32 v[166:167], s[16:17], v[28:29]
	v_fmac_f64_e32 v[22:23], s[18:19], v[32:33]
	v_add_f64 v[0:1], v[0:1], v[4:5]
	v_fmac_f64_e32 v[166:167], s[4:5], v[32:33]
	v_fmac_f64_e32 v[22:23], s[14:15], v[0:1]
	;; [unrolled: 1-line block ×3, first 2 shown]
	v_add_f64 v[0:1], v[152:153], v[2:3]
	v_add_f64 v[0:1], v[0:1], v[10:11]
	;; [unrolled: 1-line block ×5, first 2 shown]
	v_fma_f64 v[4:5], -0.5, v[0:1], v[152:153]
	v_add_f64 v[6:7], v[24:25], -v[250:251]
	v_fma_f64 v[0:1], s[6:7], v[6:7], v[4:5]
	v_add_f64 v[30:31], v[26:27], -v[248:249]
	v_add_f64 v[8:9], v[2:3], -v[10:11]
	;; [unrolled: 1-line block ×3, first 2 shown]
	v_fmac_f64_e32 v[4:5], s[16:17], v[6:7]
	v_fmac_f64_e32 v[0:1], s[4:5], v[30:31]
	v_add_f64 v[8:9], v[8:9], v[32:33]
	v_fmac_f64_e32 v[4:5], s[18:19], v[30:31]
	v_fmac_f64_e32 v[0:1], s[14:15], v[8:9]
	;; [unrolled: 1-line block ×3, first 2 shown]
	v_add_f64 v[8:9], v[2:3], v[254:255]
	v_fmac_f64_e32 v[152:153], -0.5, v[8:9]
	v_fma_f64 v[8:9], s[16:17], v[30:31], v[152:153]
	v_fmac_f64_e32 v[152:153], s[6:7], v[30:31]
	v_fmac_f64_e32 v[8:9], s[4:5], v[6:7]
	;; [unrolled: 1-line block ×3, first 2 shown]
	v_add_f64 v[6:7], v[154:155], v[24:25]
	v_add_f64 v[34:35], v[34:35], v[36:37]
	;; [unrolled: 1-line block ×3, first 2 shown]
	v_fmac_f64_e32 v[20:21], s[14:15], v[34:35]
	v_fmac_f64_e32 v[164:165], s[14:15], v[34:35]
	v_add_f64 v[32:33], v[10:11], -v[2:3]
	v_add_f64 v[34:35], v[252:253], -v[254:255]
	v_add_f64 v[6:7], v[6:7], v[248:249]
	v_add_f64 v[32:33], v[32:33], v[34:35]
	;; [unrolled: 1-line block ×4, first 2 shown]
	v_fmac_f64_e32 v[8:9], s[14:15], v[32:33]
	v_fmac_f64_e32 v[152:153], s[14:15], v[32:33]
	v_fma_f64 v[6:7], -0.5, v[6:7], v[154:155]
	v_add_f64 v[32:33], v[2:3], -v[254:255]
	v_fma_f64 v[2:3], s[16:17], v[32:33], v[6:7]
	v_add_f64 v[34:35], v[10:11], -v[252:253]
	v_add_f64 v[10:11], v[24:25], -v[26:27]
	;; [unrolled: 1-line block ×3, first 2 shown]
	v_fmac_f64_e32 v[6:7], s[6:7], v[32:33]
	v_fmac_f64_e32 v[2:3], s[18:19], v[34:35]
	v_add_f64 v[10:11], v[10:11], v[36:37]
	v_fmac_f64_e32 v[6:7], s[4:5], v[34:35]
	v_fmac_f64_e32 v[2:3], s[14:15], v[10:11]
	;; [unrolled: 1-line block ×3, first 2 shown]
	v_add_f64 v[10:11], v[24:25], v[250:251]
	v_fmac_f64_e32 v[154:155], -0.5, v[10:11]
	v_fma_f64 v[10:11], s[6:7], v[34:35], v[154:155]
	v_add_f64 v[24:25], v[26:27], -v[24:25]
	v_add_f64 v[26:27], v[248:249], -v[250:251]
	v_fmac_f64_e32 v[154:155], s[16:17], v[34:35]
	v_fmac_f64_e32 v[10:11], s[18:19], v[32:33]
	v_add_f64 v[24:25], v[24:25], v[26:27]
	v_fmac_f64_e32 v[154:155], s[4:5], v[32:33]
	v_fmac_f64_e32 v[10:11], s[14:15], v[24:25]
	;; [unrolled: 1-line block ×3, first 2 shown]
	v_accvgpr_read_b32 v24, a191
	s_waitcnt lgkmcnt(0)
	; wave barrier
	ds_write_b128 v24, v[172:175]
	ds_write_b128 v24, v[176:179] offset:144
	ds_write_b128 v24, v[180:183] offset:288
	ds_write_b128 v24, v[156:159] offset:432
	ds_write_b128 v24, v[12:15] offset:576
	v_accvgpr_read_b32 v12, a3
	ds_write_b128 v12, v[188:191]
	ds_write_b128 v12, v[192:195] offset:144
	ds_write_b128 v12, v[196:199] offset:288
	ds_write_b128 v12, v[160:163] offset:432
	ds_write_b128 v12, v[184:187] offset:576
	v_accvgpr_read_b32 v12, a73
	;; [unrolled: 6-line block ×4, first 2 shown]
	ds_write_b128 v12, v[28:31]
	ds_write_b128 v12, v[0:3] offset:144
	ds_write_b128 v12, v[8:11] offset:288
	;; [unrolled: 1-line block ×4, first 2 shown]
	s_waitcnt lgkmcnt(0)
	; wave barrier
	s_waitcnt lgkmcnt(0)
	ds_read_b128 v[160:163], v120
	ds_read_b128 v[156:159], v120 offset:1008
	ds_read_b128 v[236:239], v120 offset:7200
	;; [unrolled: 1-line block ×20, first 2 shown]
	s_and_saveexec_b64 s[4:5], s[2:3]
	s_cbranch_execz .LBB0_27
; %bb.26:
	ds_read_b128 v[0:3], v120 offset:3024
	ds_read_b128 v[8:11], v120 offset:6624
	;; [unrolled: 1-line block ×7, first 2 shown]
.LBB0_27:
	s_or_b64 exec, exec, s[4:5]
	v_accvgpr_read_b32 v22, a30
	v_accvgpr_read_b32 v24, a32
	;; [unrolled: 1-line block ×4, first 2 shown]
	s_waitcnt lgkmcnt(12)
	v_mul_f64 v[20:21], v[24:25], v[18:19]
	v_fmac_f64_e32 v[20:21], v[22:23], v[16:17]
	v_mul_f64 v[16:17], v[24:25], v[16:17]
	v_accvgpr_read_b32 v27, a11
	v_accvgpr_read_b32 v26, a10
	;; [unrolled: 1-line block ×3, first 2 shown]
	v_fma_f64 v[16:17], v[22:23], v[18:19], -v[16:17]
	v_accvgpr_read_b32 v25, a9
	v_accvgpr_read_b32 v24, a8
	v_mul_f64 v[18:19], v[26:27], v[238:239]
	v_mul_f64 v[22:23], v[26:27], v[236:237]
	v_accvgpr_read_b32 v30, a28
	v_accvgpr_read_b32 v35, a15
	v_fmac_f64_e32 v[18:19], v[24:25], v[236:237]
	v_fma_f64 v[22:23], v[24:25], v[238:239], -v[22:23]
	v_accvgpr_read_b32 v29, a27
	v_accvgpr_read_b32 v28, a26
	s_waitcnt lgkmcnt(8)
	v_mul_f64 v[24:25], v[30:31], v[254:255]
	v_mul_f64 v[26:27], v[30:31], v[252:253]
	v_accvgpr_read_b32 v34, a14
	v_accvgpr_read_b32 v39, a23
	v_fmac_f64_e32 v[24:25], v[28:29], v[252:253]
	v_fma_f64 v[26:27], v[28:29], v[254:255], -v[26:27]
	v_accvgpr_read_b32 v33, a13
	v_accvgpr_read_b32 v32, a12
	v_mul_f64 v[28:29], v[34:35], v[234:235]
	v_mul_f64 v[30:31], v[34:35], v[232:233]
	v_accvgpr_read_b32 v38, a22
	v_accvgpr_read_b32 v44, a52
	v_fmac_f64_e32 v[28:29], v[32:33], v[232:233]
	v_fma_f64 v[30:31], v[32:33], v[234:235], -v[30:31]
	v_accvgpr_read_b32 v37, a21
	v_accvgpr_read_b32 v36, a20
	s_waitcnt lgkmcnt(4)
	v_mul_f64 v[32:33], v[38:39], v[250:251]
	v_mul_f64 v[34:35], v[38:39], v[248:249]
	v_accvgpr_read_b32 v46, a54
	v_accvgpr_read_b32 v47, a55
	v_fmac_f64_e32 v[32:33], v[36:37], v[248:249]
	v_fma_f64 v[34:35], v[36:37], v[250:251], -v[34:35]
	v_mul_f64 v[36:37], v[46:47], v[226:227]
	v_mul_f64 v[38:39], v[46:47], v[224:225]
	v_accvgpr_read_b32 v49, a47
	v_accvgpr_read_b32 v45, a53
	;; [unrolled: 1-line block ×3, first 2 shown]
	v_fmac_f64_e32 v[36:37], v[44:45], v[224:225]
	v_fma_f64 v[38:39], v[44:45], v[226:227], -v[38:39]
	v_accvgpr_read_b32 v47, a45
	v_accvgpr_read_b32 v46, a44
	v_mul_f64 v[68:69], v[48:49], v[230:231]
	v_mul_f64 v[44:45], v[48:49], v[228:229]
	v_fmac_f64_e32 v[68:69], v[46:47], v[228:229]
	v_fma_f64 v[70:71], v[46:47], v[230:231], -v[44:45]
	v_accvgpr_read_b32 v46, a68
	v_accvgpr_read_b32 v48, a70
	v_accvgpr_read_b32 v49, a71
	v_accvgpr_read_b32 v47, a69
	v_mul_f64 v[122:123], v[48:49], v[198:199]
	v_mul_f64 v[44:45], v[48:49], v[196:197]
	v_fmac_f64_e32 v[122:123], v[46:47], v[196:197]
	v_fma_f64 v[196:197], v[46:47], v[198:199], -v[44:45]
	v_accvgpr_read_b32 v46, a86
	v_accvgpr_read_b32 v48, a88
	;; [unrolled: 8-line block ×4, first 2 shown]
	v_accvgpr_read_b32 v47, a35
	v_accvgpr_read_b32 v46, a34
	s_waitcnt lgkmcnt(2)
	v_mul_f64 v[194:195], v[48:49], v[202:203]
	v_mul_f64 v[44:45], v[48:49], v[200:201]
	v_fmac_f64_e32 v[194:195], v[46:47], v[200:201]
	v_fma_f64 v[200:201], v[46:47], v[202:203], -v[44:45]
	v_accvgpr_read_b32 v49, a43
	v_accvgpr_read_b32 v48, a42
	;; [unrolled: 1-line block ×3, first 2 shown]
	v_mul_f64 v[202:203], v[48:49], v[190:191]
	v_mul_f64 v[44:45], v[48:49], v[188:189]
	;; [unrolled: 1-line block ×3, first 2 shown]
	v_accvgpr_read_b32 v58, a84
	v_accvgpr_read_b32 v59, a85
	;; [unrolled: 1-line block ×3, first 2 shown]
	v_fma_f64 v[52:53], v[72:73], v[182:183], -v[48:49]
	v_accvgpr_read_b32 v57, a83
	v_mul_f64 v[48:49], v[58:59], v[178:179]
	v_mul_f64 v[54:55], v[58:59], v[176:177]
	v_accvgpr_read_b32 v62, a96
	v_accvgpr_read_b32 v63, a97
	v_fmac_f64_e32 v[48:49], v[56:57], v[176:177]
	v_fma_f64 v[54:55], v[56:57], v[178:179], -v[54:55]
	v_accvgpr_read_b32 v61, a95
	v_mul_f64 v[56:57], v[62:63], v[174:175]
	v_mul_f64 v[58:59], v[62:63], v[172:173]
	v_fmac_f64_e32 v[56:57], v[60:61], v[172:173]
	v_fma_f64 v[58:59], v[60:61], v[174:175], -v[58:59]
	s_waitcnt lgkmcnt(1)
	v_mul_f64 v[60:61], v[42:43], v[170:171]
	v_mul_f64 v[42:43], v[42:43], v[168:169]
	v_fmac_f64_e32 v[60:61], v[40:41], v[168:169]
	v_fma_f64 v[62:63], v[40:41], v[170:171], -v[42:43]
	s_waitcnt lgkmcnt(0)
	v_mul_f64 v[40:41], v[82:83], v[164:165]
	v_accvgpr_read_b32 v47, a41
	v_accvgpr_read_b32 v46, a40
	v_fma_f64 v[66:67], v[80:81], v[166:167], -v[40:41]
	v_add_f64 v[40:41], v[20:21], v[36:37]
	v_add_f64 v[20:21], v[20:21], -v[36:37]
	v_add_f64 v[36:37], v[18:19], v[32:33]
	v_fmac_f64_e32 v[202:203], v[46:47], v[188:189]
	v_fma_f64 v[188:189], v[46:47], v[190:191], -v[44:45]
	v_mul_f64 v[46:47], v[78:79], v[184:185]
	v_add_f64 v[42:43], v[16:17], v[38:39]
	v_add_f64 v[16:17], v[16:17], -v[38:39]
	v_add_f64 v[38:39], v[22:23], v[34:35]
	v_add_f64 v[18:19], v[18:19], -v[32:33]
	v_add_f64 v[22:23], v[22:23], -v[34:35]
	v_add_f64 v[32:33], v[24:25], v[28:29]
	v_add_f64 v[34:35], v[26:27], v[30:31]
	v_add_f64 v[24:25], v[28:29], -v[24:25]
	v_add_f64 v[26:27], v[30:31], -v[26:27]
	v_add_f64 v[28:29], v[36:37], v[40:41]
	v_mul_f64 v[44:45], v[78:79], v[186:187]
	v_fma_f64 v[50:51], v[76:77], v[186:187], -v[46:47]
	v_mul_f64 v[46:47], v[74:75], v[182:183]
	v_add_f64 v[30:31], v[38:39], v[42:43]
	v_add_f64 v[78:79], v[26:27], v[22:23]
	;; [unrolled: 1-line block ×3, first 2 shown]
	v_fmac_f64_e32 v[46:47], v[72:73], v[180:181]
	v_mul_f64 v[64:65], v[82:83], v[166:167]
	v_add_f64 v[72:73], v[36:37], -v[40:41]
	v_add_f64 v[40:41], v[40:41], -v[32:33]
	;; [unrolled: 1-line block ×6, first 2 shown]
	v_add_f64 v[30:31], v[34:35], v[30:31]
	v_add_f64 v[32:33], v[78:79], v[16:17]
	;; [unrolled: 1-line block ×3, first 2 shown]
	s_mov_b32 s14, 0x37e14327
	s_mov_b32 s16, 0x36b3c0b5
	;; [unrolled: 1-line block ×5, first 2 shown]
	v_fmac_f64_e32 v[44:45], v[76:77], v[184:185]
	v_fmac_f64_e32 v[64:65], v[80:81], v[164:165]
	v_add_f64 v[74:75], v[38:39], -v[42:43]
	v_add_f64 v[42:43], v[42:43], -v[34:35]
	;; [unrolled: 1-line block ×3, first 2 shown]
	v_add_f64 v[76:77], v[24:25], v[18:19]
	v_add_f64 v[80:81], v[24:25], -v[18:19]
	v_add_f64 v[164:165], v[18:19], -v[20:21]
	v_add_f64 v[18:19], v[162:163], v[30:31]
	s_mov_b32 s15, 0x3fe948f6
	s_mov_b32 s17, 0x3fac98ee
	;; [unrolled: 1-line block ×5, first 2 shown]
	v_pk_mov_b32 v[162:163], v[16:17], v[16:17] op_sel:[0,1]
	s_mov_b32 s6, 0x5476071b
	s_mov_b32 s28, 0xb247c609
	v_add_f64 v[24:25], v[20:21], -v[24:25]
	v_add_f64 v[20:21], v[76:77], v[20:21]
	v_mul_f64 v[34:35], v[40:41], s[14:15]
	v_mul_f64 v[40:41], v[42:43], s[14:15]
	;; [unrolled: 1-line block ×7, first 2 shown]
	v_fmac_f64_e32 v[162:163], s[26:27], v[28:29]
	v_pk_mov_b32 v[28:29], v[18:19], v[18:19] op_sel:[0,1]
	s_mov_b32 s7, 0x3fe77f67
	s_mov_b32 s21, 0xbfe77f67
	;; [unrolled: 1-line block ×7, first 2 shown]
	v_mul_f64 v[160:161], v[22:23], s[4:5]
	v_fmac_f64_e32 v[28:29], s[26:27], v[30:31]
	v_fma_f64 v[30:31], v[72:73], s[6:7], -v[42:43]
	v_fma_f64 v[42:43], v[74:75], s[6:7], -v[76:77]
	v_fma_f64 v[72:73], v[72:73], s[20:21], -v[34:35]
	v_fmac_f64_e32 v[34:35], s[16:17], v[36:37]
	v_fma_f64 v[36:37], v[74:75], s[20:21], -v[40:41]
	v_fmac_f64_e32 v[40:41], s[16:17], v[38:39]
	v_fma_f64 v[38:39], v[164:165], s[4:5], -v[78:79]
	v_fma_f64 v[74:75], v[22:23], s[4:5], -v[80:81]
	;; [unrolled: 1-line block ×3, first 2 shown]
	s_mov_b32 s23, 0xbfdc38aa
	v_fmac_f64_e32 v[78:79], s[28:29], v[24:25]
	v_fmac_f64_e32 v[80:81], s[28:29], v[26:27]
	v_fma_f64 v[82:83], v[26:27], s[24:25], -v[160:161]
	v_add_f64 v[160:161], v[34:35], v[162:163]
	v_add_f64 v[164:165], v[40:41], v[28:29]
	;; [unrolled: 1-line block ×6, first 2 shown]
	v_fmac_f64_e32 v[38:39], s[22:23], v[20:21]
	v_fmac_f64_e32 v[74:75], s[22:23], v[32:33]
	;; [unrolled: 1-line block ×6, first 2 shown]
	v_add_f64 v[26:27], v[72:73], -v[76:77]
	v_add_f64 v[28:29], v[34:35], -v[74:75]
	v_add_f64 v[30:31], v[38:39], v[40:41]
	v_add_f64 v[32:33], v[74:75], v[34:35]
	v_add_f64 v[34:35], v[40:41], -v[38:39]
	v_add_f64 v[38:39], v[76:77], v[72:73]
	v_add_f64 v[72:73], v[68:69], v[202:203]
	;; [unrolled: 1-line block ×4, first 2 shown]
	v_add_f64 v[22:23], v[164:165], -v[78:79]
	v_add_f64 v[24:25], v[82:83], v[42:43]
	v_add_f64 v[36:37], v[42:43], -v[82:83]
	v_add_f64 v[40:41], v[160:161], -v[80:81]
	v_add_f64 v[42:43], v[78:79], v[164:165]
	v_add_f64 v[74:75], v[70:71], v[188:189]
	;; [unrolled: 1-line block ×3, first 2 shown]
	v_add_f64 v[80:81], v[122:123], -v[194:195]
	v_add_f64 v[122:123], v[198:199], v[206:207]
	v_add_f64 v[162:163], v[206:207], -v[198:199]
	v_add_f64 v[166:167], v[76:77], v[72:73]
	v_add_f64 v[68:69], v[68:69], -v[202:203]
	v_add_f64 v[82:83], v[196:197], -v[200:201]
	v_add_f64 v[160:161], v[204:205], v[192:193]
	v_add_f64 v[164:165], v[192:193], -v[204:205]
	v_add_f64 v[168:169], v[78:79], v[74:75]
	v_add_f64 v[170:171], v[76:77], -v[72:73]
	v_add_f64 v[72:73], v[72:73], -v[122:123]
	;; [unrolled: 1-line block ×3, first 2 shown]
	v_add_f64 v[174:175], v[162:163], v[80:81]
	v_add_f64 v[122:123], v[122:123], v[166:167]
	v_add_f64 v[70:71], v[70:71], -v[188:189]
	v_add_f64 v[172:173], v[78:79], -v[74:75]
	;; [unrolled: 1-line block ×4, first 2 shown]
	v_add_f64 v[176:177], v[164:165], v[82:83]
	v_add_f64 v[178:179], v[162:163], -v[80:81]
	v_add_f64 v[162:163], v[68:69], -v[162:163]
	v_add_f64 v[80:81], v[80:81], -v[68:69]
	v_add_f64 v[160:161], v[160:161], v[168:169]
	v_add_f64 v[166:167], v[174:175], v[68:69]
	;; [unrolled: 1-line block ×3, first 2 shown]
	v_add_f64 v[180:181], v[164:165], -v[82:83]
	v_add_f64 v[164:165], v[70:71], -v[164:165]
	;; [unrolled: 1-line block ×3, first 2 shown]
	v_add_f64 v[168:169], v[176:177], v[70:71]
	v_add_f64 v[70:71], v[158:159], v[160:161]
	v_pk_mov_b32 v[182:183], v[68:69], v[68:69] op_sel:[0,1]
	v_mul_f64 v[72:73], v[72:73], s[14:15]
	v_mul_f64 v[74:75], v[74:75], s[14:15]
	;; [unrolled: 1-line block ×6, first 2 shown]
	v_fmac_f64_e32 v[182:183], s[26:27], v[122:123]
	v_pk_mov_b32 v[122:123], v[70:71], v[70:71] op_sel:[0,1]
	v_mul_f64 v[176:177], v[180:181], s[18:19]
	v_mul_f64 v[180:181], v[82:83], s[4:5]
	v_fmac_f64_e32 v[122:123], s[26:27], v[160:161]
	v_fma_f64 v[156:157], v[170:171], s[6:7], -v[156:157]
	v_fma_f64 v[158:159], v[172:173], s[6:7], -v[158:159]
	;; [unrolled: 1-line block ×3, first 2 shown]
	v_fmac_f64_e32 v[72:73], s[16:17], v[76:77]
	v_fma_f64 v[76:77], v[172:173], s[20:21], -v[74:75]
	v_fmac_f64_e32 v[74:75], s[16:17], v[78:79]
	v_fma_f64 v[170:171], v[80:81], s[4:5], -v[174:175]
	v_fmac_f64_e32 v[174:175], s[28:29], v[162:163]
	v_fma_f64 v[162:163], v[162:163], s[24:25], -v[178:179]
	v_fma_f64 v[172:173], v[82:83], s[4:5], -v[176:177]
	v_fmac_f64_e32 v[176:177], s[28:29], v[164:165]
	v_fma_f64 v[164:165], v[164:165], s[24:25], -v[180:181]
	v_add_f64 v[180:181], v[74:75], v[122:123]
	v_add_f64 v[158:159], v[158:159], v[122:123]
	;; [unrolled: 1-line block ×3, first 2 shown]
	v_fmac_f64_e32 v[162:163], s[22:23], v[166:167]
	v_add_f64 v[78:79], v[122:123], -v[162:163]
	v_add_f64 v[162:163], v[162:163], v[122:123]
	v_add_f64 v[122:123], v[44:45], v[64:65]
	v_add_f64 v[44:45], v[44:45], -v[64:65]
	v_add_f64 v[64:65], v[46:47], v[60:61]
	v_fmac_f64_e32 v[176:177], s[22:23], v[168:169]
	v_fmac_f64_e32 v[172:173], s[22:23], v[168:169]
	v_fmac_f64_e32 v[164:165], s[22:23], v[168:169]
	v_add_f64 v[168:169], v[50:51], v[66:67]
	v_add_f64 v[50:51], v[50:51], -v[66:67]
	v_add_f64 v[66:67], v[52:53], v[62:63]
	v_add_f64 v[46:47], v[46:47], -v[60:61]
	;; [unrolled: 2-line block ×5, first 2 shown]
	v_add_f64 v[58:59], v[66:67], v[168:169]
	v_add_f64 v[56:57], v[60:61], v[56:57]
	;; [unrolled: 1-line block ×3, first 2 shown]
	v_fmac_f64_e32 v[170:171], s[22:23], v[166:167]
	v_add_f64 v[58:59], v[62:63], v[58:59]
	v_add_f64 v[12:13], v[12:13], v[56:57]
	;; [unrolled: 1-line block ×4, first 2 shown]
	v_fmac_f64_e32 v[174:175], s[22:23], v[166:167]
	v_add_f64 v[80:81], v[156:157], -v[172:173]
	v_add_f64 v[82:83], v[170:171], v[158:159]
	v_add_f64 v[156:157], v[172:173], v[156:157]
	v_add_f64 v[158:159], v[158:159], -v[170:171]
	v_add_f64 v[170:171], v[64:65], -v[122:123]
	;; [unrolled: 1-line block ×7, first 2 shown]
	v_add_f64 v[14:15], v[14:15], v[58:59]
	v_pk_mov_b32 v[182:183], v[12:13], v[12:13] op_sel:[0,1]
	v_add_f64 v[72:73], v[176:177], v[178:179]
	v_add_f64 v[74:75], v[180:181], -v[174:175]
	v_add_f64 v[76:77], v[164:165], v[160:161]
	v_add_f64 v[160:161], v[160:161], -v[164:165]
	v_add_f64 v[164:165], v[178:179], -v[176:177]
	v_add_f64 v[166:167], v[174:175], v[180:181]
	v_add_f64 v[174:175], v[48:49], v[46:47]
	;; [unrolled: 1-line block ×3, first 2 shown]
	v_add_f64 v[178:179], v[48:49], -v[46:47]
	v_add_f64 v[180:181], v[54:55], -v[52:53]
	;; [unrolled: 1-line block ×4, first 2 shown]
	v_mul_f64 v[60:61], v[122:123], s[14:15]
	v_mul_f64 v[62:63], v[168:169], s[14:15]
	v_mul_f64 v[122:123], v[64:65], s[16:17]
	v_mul_f64 v[168:169], v[66:67], s[16:17]
	v_fmac_f64_e32 v[182:183], s[26:27], v[56:57]
	v_pk_mov_b32 v[56:57], v[14:15], v[14:15] op_sel:[0,1]
	v_add_f64 v[48:49], v[44:45], -v[48:49]
	v_add_f64 v[54:55], v[50:51], -v[54:55]
	v_add_f64 v[44:45], v[174:175], v[44:45]
	v_add_f64 v[50:51], v[176:177], v[50:51]
	v_mul_f64 v[174:175], v[178:179], s[18:19]
	v_mul_f64 v[176:177], v[180:181], s[18:19]
	;; [unrolled: 1-line block ×4, first 2 shown]
	v_fmac_f64_e32 v[56:57], s[26:27], v[58:59]
	v_fma_f64 v[58:59], v[170:171], s[6:7], -v[122:123]
	v_fma_f64 v[122:123], v[172:173], s[6:7], -v[168:169]
	;; [unrolled: 1-line block ×3, first 2 shown]
	v_fmac_f64_e32 v[60:61], s[16:17], v[64:65]
	v_fma_f64 v[64:65], v[172:173], s[20:21], -v[62:63]
	v_fmac_f64_e32 v[62:63], s[16:17], v[66:67]
	v_fma_f64 v[66:67], v[46:47], s[4:5], -v[174:175]
	;; [unrolled: 2-line block ×4, first 2 shown]
	v_fma_f64 v[178:179], v[54:55], s[24:25], -v[180:181]
	v_add_f64 v[180:181], v[60:61], v[182:183]
	v_add_f64 v[60:61], v[122:123], v[56:57]
	v_accvgpr_read_b32 v122, a25
	v_add_f64 v[184:185], v[62:63], v[56:57]
	v_add_f64 v[58:59], v[58:59], v[182:183]
	;; [unrolled: 1-line block ×4, first 2 shown]
	v_fmac_f64_e32 v[174:175], s[22:23], v[44:45]
	v_fmac_f64_e32 v[176:177], s[22:23], v[50:51]
	;; [unrolled: 1-line block ×6, first 2 shown]
	s_waitcnt lgkmcnt(0)
	; wave barrier
	ds_write_b128 v122, v[16:19]
	ds_write_b128 v122, v[20:23] offset:720
	ds_write_b128 v122, v[24:27] offset:1440
	;; [unrolled: 1-line block ×6, first 2 shown]
	v_accvgpr_read_b32 v16, a38
	v_add_f64 v[44:45], v[176:177], v[180:181]
	v_add_f64 v[46:47], v[184:185], -v[174:175]
	v_add_f64 v[48:49], v[178:179], v[62:63]
	v_add_f64 v[50:51], v[64:65], -v[172:173]
	v_add_f64 v[52:53], v[58:59], -v[170:171]
	v_add_f64 v[54:55], v[66:67], v[60:61]
	v_add_f64 v[56:57], v[170:171], v[58:59]
	v_add_f64 v[58:59], v[60:61], -v[66:67]
	v_add_f64 v[60:61], v[62:63], -v[178:179]
	v_add_f64 v[62:63], v[172:173], v[64:65]
	v_add_f64 v[64:65], v[180:181], -v[176:177]
	v_add_f64 v[66:67], v[174:175], v[184:185]
	ds_write_b128 v16, v[68:71]
	ds_write_b128 v16, v[72:75] offset:720
	ds_write_b128 v16, v[76:79] offset:1440
	;; [unrolled: 1-line block ×6, first 2 shown]
	ds_write_b128 v121, v[12:15]
	ds_write_b128 v121, v[44:47] offset:720
	ds_write_b128 v121, v[48:51] offset:1440
	;; [unrolled: 1-line block ×6, first 2 shown]
	s_and_saveexec_b64 s[30:31], s[2:3]
	s_cbranch_execz .LBB0_29
; %bb.28:
	v_accvgpr_read_b32 v38, a244
	v_accvgpr_read_b32 v54, a182
	;; [unrolled: 1-line block ×17, first 2 shown]
	v_mul_f64 v[12:13], v[40:41], v[10:11]
	v_accvgpr_read_b32 v55, a183
	v_accvgpr_read_b32 v63, a57
	;; [unrolled: 1-line block ×3, first 2 shown]
	v_mul_f64 v[14:15], v[56:57], v[64:65]
	v_accvgpr_read_b32 v48, a234
	v_accvgpr_read_b32 v49, a235
	;; [unrolled: 1-line block ×5, first 2 shown]
	v_mul_f64 v[26:27], v[44:45], v[154:155]
	v_accvgpr_read_b32 v59, a187
	v_mul_f64 v[28:29], v[60:61], v[150:151]
	v_fmac_f64_e32 v[12:13], v[38:39], v[8:9]
	v_fmac_f64_e32 v[14:15], v[54:55], v[62:63]
	v_accvgpr_read_b32 v47, a233
	v_mul_f64 v[18:19], v[48:49], v[146:147]
	v_accvgpr_read_b32 v51, a237
	v_mul_f64 v[20:21], v[52:53], v[6:7]
	v_fmac_f64_e32 v[26:27], v[42:43], v[152:153]
	v_fmac_f64_e32 v[28:29], v[58:59], v[148:149]
	v_add_f64 v[16:17], v[12:13], -v[14:15]
	v_fmac_f64_e32 v[18:19], v[46:47], v[144:145]
	v_fmac_f64_e32 v[20:21], v[50:51], v[4:5]
	v_add_f64 v[12:13], v[12:13], v[14:15]
	v_add_f64 v[14:15], v[26:27], v[28:29]
	v_add_f64 v[22:23], v[18:19], -v[20:21]
	v_add_f64 v[30:31], v[26:27], -v[28:29]
	v_add_f64 v[26:27], v[14:15], v[12:13]
	v_add_f64 v[18:19], v[20:21], v[18:19]
	;; [unrolled: 1-line block ×4, first 2 shown]
	v_pk_mov_b32 v[26:27], v[0:1], v[0:1] op_sel:[0,1]
	v_fmac_f64_e32 v[26:27], s[26:27], v[20:21]
	v_add_f64 v[20:21], v[12:13], -v[18:19]
	v_add_f64 v[18:19], v[18:19], -v[14:15]
	v_mul_f64 v[20:21], v[20:21], s[14:15]
	v_mul_f64 v[28:29], v[18:19], s[16:17]
	v_add_f64 v[12:13], v[14:15], -v[12:13]
	v_fma_f64 v[14:15], v[12:13], s[20:21], -v[20:21]
	v_fma_f64 v[12:13], v[12:13], s[6:7], -v[28:29]
	buffer_load_dword v29, off, s[40:43], 0 offset:420 ; 4-byte Folded Reload
	v_mul_f64 v[8:9], v[40:41], v[8:9]
	v_mul_f64 v[36:37], v[56:57], v[62:63]
	v_fma_f64 v[8:9], v[38:39], v[10:11], -v[8:9]
	v_mul_f64 v[38:39], v[60:61], v[148:149]
	v_mul_f64 v[40:41], v[44:45], v[152:153]
	;; [unrolled: 1-line block ×3, first 2 shown]
	v_fma_f64 v[36:37], v[54:55], v[64:65], -v[36:37]
	v_fma_f64 v[38:39], v[58:59], v[150:151], -v[38:39]
	;; [unrolled: 1-line block ×4, first 2 shown]
	v_mul_f64 v[6:7], v[48:49], v[144:145]
	v_add_f64 v[10:11], v[8:9], v[36:37]
	v_add_f64 v[42:43], v[40:41], v[38:39]
	v_fma_f64 v[46:47], v[46:47], v[146:147], -v[6:7]
	v_add_f64 v[44:45], v[42:43], v[10:11]
	v_add_f64 v[6:7], v[4:5], v[46:47]
	v_add_f64 v[44:45], v[6:7], v[44:45]
	v_add_f64 v[24:25], v[16:17], -v[22:23]
	v_add_f64 v[32:33], v[22:23], -v[30:31]
	v_add_f64 v[22:23], v[22:23], v[30:31]
	v_add_f64 v[2:3], v[2:3], v[44:45]
	;; [unrolled: 1-line block ×3, first 2 shown]
	v_pk_mov_b32 v[48:49], v[2:3], v[2:3] op_sel:[0,1]
	v_fma_f64 v[18:19], s[16:17], v[18:19], v[20:21]
	v_add_f64 v[8:9], v[8:9], -v[36:37]
	v_add_f64 v[4:5], v[46:47], -v[4:5]
	;; [unrolled: 1-line block ×4, first 2 shown]
	v_mul_f64 v[32:33], v[32:33], s[18:19]
	v_fmac_f64_e32 v[48:49], s[26:27], v[44:45]
	v_add_f64 v[44:45], v[10:11], -v[6:7]
	v_add_f64 v[6:7], v[6:7], -v[42:43]
	v_add_f64 v[54:55], v[18:19], v[26:27]
	v_add_f64 v[18:19], v[8:9], -v[4:5]
	v_add_f64 v[38:39], v[4:5], -v[36:37]
	v_add_f64 v[4:5], v[4:5], v[36:37]
	v_mul_f64 v[30:31], v[16:17], s[4:5]
	v_add_f64 v[36:37], v[36:37], -v[8:9]
	v_fma_f64 v[34:35], s[28:29], v[24:25], v[32:33]
	v_mul_f64 v[44:45], v[44:45], s[14:15]
	v_mul_f64 v[50:51], v[6:7], s[16:17]
	;; [unrolled: 1-line block ×3, first 2 shown]
	v_add_f64 v[46:47], v[4:5], v[8:9]
	v_fma_f64 v[24:25], v[24:25], s[24:25], -v[30:31]
	v_add_f64 v[30:31], v[42:43], -v[10:11]
	v_mul_f64 v[8:9], v[36:37], s[4:5]
	v_fma_f64 v[16:17], v[16:17], s[4:5], -v[32:33]
	v_fmac_f64_e32 v[34:35], s[22:23], v[22:23]
	v_fma_f64 v[6:7], s[16:17], v[6:7], v[44:45]
	v_fma_f64 v[40:41], s[28:29], v[18:19], v[38:39]
	v_fmac_f64_e32 v[24:25], s[22:23], v[22:23]
	v_fma_f64 v[10:11], v[30:31], s[20:21], -v[44:45]
	v_add_f64 v[20:21], v[14:15], v[26:27]
	v_fma_f64 v[44:45], v[18:19], s[24:25], -v[8:9]
	v_fma_f64 v[14:15], v[30:31], s[6:7], -v[50:51]
	v_fmac_f64_e32 v[16:17], s[22:23], v[22:23]
	v_add_f64 v[22:23], v[12:13], v[26:27]
	v_fma_f64 v[26:27], v[36:37], s[4:5], -v[38:39]
	v_mov_b32_e32 v28, 4
	v_add_f64 v[52:53], v[6:7], v[48:49]
	v_fmac_f64_e32 v[40:41], s[22:23], v[46:47]
	v_add_f64 v[42:43], v[10:11], v[48:49]
	v_fmac_f64_e32 v[44:45], s[22:23], v[46:47]
	;; [unrolled: 2-line block ×3, first 2 shown]
	v_add_f64 v[6:7], v[34:35], v[52:53]
	v_add_f64 v[4:5], v[54:55], -v[40:41]
	v_add_f64 v[10:11], v[24:25], v[42:43]
	v_add_f64 v[8:9], v[20:21], -v[44:45]
	v_add_f64 v[14:15], v[18:19], -v[16:17]
	v_add_f64 v[12:13], v[26:27], v[22:23]
	v_add_f64 v[18:19], v[16:17], v[18:19]
	v_add_f64 v[16:17], v[22:23], -v[26:27]
	v_add_f64 v[22:23], v[42:43], -v[24:25]
	v_add_f64 v[20:21], v[44:45], v[20:21]
	v_add_f64 v[26:27], v[52:53], -v[34:35]
	v_add_f64 v[24:25], v[40:41], v[54:55]
	s_waitcnt vmcnt(0)
	v_lshlrev_b32_sdwa v28, v28, v29 dst_sel:DWORD dst_unused:UNUSED_PAD src0_sel:DWORD src1_sel:BYTE_0
	ds_write_b128 v28, v[0:3] offset:20160
	ds_write_b128 v28, v[24:27] offset:20880
	;; [unrolled: 1-line block ×7, first 2 shown]
.LBB0_29:
	s_or_b64 exec, exec, s[30:31]
	s_waitcnt lgkmcnt(0)
	; wave barrier
	s_waitcnt lgkmcnt(0)
	ds_read_b128 v[20:23], v120 offset:5040
	ds_read_b128 v[0:3], v120
	ds_read_b128 v[4:7], v120 offset:1008
	ds_read_b128 v[24:27], v120 offset:10080
	;; [unrolled: 1-line block ×14, first 2 shown]
	s_waitcnt lgkmcnt(14)
	v_mul_f64 v[44:45], v[210:211], v[22:23]
	v_fmac_f64_e32 v[44:45], v[208:209], v[20:21]
	v_mul_f64 v[20:21], v[210:211], v[20:21]
	v_fma_f64 v[48:49], v[208:209], v[22:23], -v[20:21]
	ds_read_b128 v[20:23], v120 offset:15120
	s_waitcnt lgkmcnt(13)
	v_mul_f64 v[60:61], v[214:215], v[26:27]
	v_fmac_f64_e32 v[60:61], v[212:213], v[24:25]
	v_mul_f64 v[24:25], v[214:215], v[24:25]
	v_fma_f64 v[122:123], v[212:213], v[26:27], -v[24:25]
	ds_read_b128 v[24:27], v120 offset:14112
	s_waitcnt lgkmcnt(1)
	v_mul_f64 v[154:155], v[94:95], v[22:23]
	v_fmac_f64_e32 v[154:155], v[92:93], v[20:21]
	v_mul_f64 v[20:21], v[94:95], v[20:21]
	v_fma_f64 v[156:157], v[92:93], v[22:23], -v[20:21]
	v_mul_f64 v[158:159], v[90:91], v[34:35]
	v_mul_f64 v[20:21], v[90:91], v[32:33]
	v_fmac_f64_e32 v[158:159], v[88:89], v[32:33]
	v_fma_f64 v[160:161], v[88:89], v[34:35], -v[20:21]
	ds_read_b128 v[20:23], v120 offset:22176
	ds_read_b128 v[32:35], v120 offset:23184
	v_mul_f64 v[46:47], v[242:243], v[42:43]
	v_mul_f64 v[50:51], v[246:247], v[30:31]
	v_fmac_f64_e32 v[46:47], v[240:241], v[40:41]
	v_mul_f64 v[40:41], v[242:243], v[40:41]
	v_fmac_f64_e32 v[50:51], v[244:245], v[28:29]
	v_mul_f64 v[28:29], v[246:247], v[28:29]
	v_fma_f64 v[52:53], v[240:241], v[42:43], -v[40:41]
	v_fma_f64 v[54:55], v[244:245], v[30:31], -v[28:29]
	ds_read_b128 v[28:31], v120 offset:8064
	ds_read_b128 v[40:43], v120 offset:9072
	v_mul_f64 v[162:163], v[222:223], v[58:59]
	v_mul_f64 v[164:165], v[218:219], v[38:39]
	;; [unrolled: 1-line block ×3, first 2 shown]
	v_fmac_f64_e32 v[162:163], v[220:221], v[56:57]
	v_mul_f64 v[56:57], v[222:223], v[56:57]
	v_fmac_f64_e32 v[164:165], v[216:217], v[36:37]
	v_mul_f64 v[36:37], v[218:219], v[36:37]
	;; [unrolled: 2-line block ×3, first 2 shown]
	v_fma_f64 v[56:57], v[220:221], v[58:59], -v[56:57]
	v_fma_f64 v[58:59], v[216:217], v[38:39], -v[36:37]
	ds_read_b128 v[36:39], v120 offset:18144
	ds_read_b128 v[88:91], v120 offset:19152
	v_fma_f64 v[68:69], v[104:105], v[66:67], -v[64:65]
	v_mul_f64 v[66:67], v[110:111], v[78:79]
	v_mul_f64 v[64:65], v[110:111], v[76:77]
	s_waitcnt lgkmcnt(5)
	v_mul_f64 v[144:145], v[98:99], v[22:23]
	v_fmac_f64_e32 v[66:67], v[108:109], v[76:77]
	v_fma_f64 v[70:71], v[108:109], v[78:79], -v[64:65]
	v_mul_f64 v[76:77], v[102:103], v[74:75]
	v_mul_f64 v[64:65], v[102:103], v[72:73]
	v_fmac_f64_e32 v[144:145], v[96:97], v[20:21]
	v_mul_f64 v[20:21], v[98:99], v[20:21]
	v_fmac_f64_e32 v[76:77], v[100:101], v[72:73]
	v_fma_f64 v[72:73], v[100:101], v[74:75], -v[64:65]
	v_fma_f64 v[74:75], v[96:97], v[22:23], -v[20:21]
	s_waitcnt lgkmcnt(3)
	v_mul_f64 v[20:21], v[118:119], v[28:29]
	v_fma_f64 v[100:101], v[116:117], v[30:31], -v[20:21]
	v_mul_f64 v[20:21], v[126:127], v[146:147]
	ds_read_b128 v[150:153], v120 offset:24192
	v_fma_f64 v[102:103], v[124:125], v[148:149], -v[20:21]
	s_waitcnt lgkmcnt(2)
	v_mul_f64 v[20:21], v[86:87], v[36:37]
	v_fma_f64 v[104:105], v[84:85], v[38:39], -v[20:21]
	v_mul_f64 v[20:21], v[114:115], v[32:33]
	v_mul_f64 v[110:111], v[86:87], v[38:39]
	v_fma_f64 v[106:107], v[112:113], v[34:35], -v[20:21]
	v_mul_f64 v[20:21], v[130:131], v[40:41]
	v_fmac_f64_e32 v[110:111], v[84:85], v[36:37]
	v_fma_f64 v[84:85], v[128:129], v[42:43], -v[20:21]
	v_mul_f64 v[20:21], v[142:143], v[24:25]
	v_fma_f64 v[86:87], v[140:141], v[26:27], -v[20:21]
	s_waitcnt lgkmcnt(1)
	v_mul_f64 v[96:97], v[134:135], v[90:91]
	v_mul_f64 v[20:21], v[134:135], v[88:89]
	v_fmac_f64_e32 v[96:97], v[132:133], v[88:89]
	v_fma_f64 v[88:89], v[132:133], v[90:91], -v[20:21]
	s_waitcnt lgkmcnt(0)
	v_mul_f64 v[20:21], v[138:139], v[150:151]
	v_fma_f64 v[90:91], v[136:137], v[152:153], -v[20:21]
	v_add_f64 v[20:21], v[0:1], v[44:45]
	v_add_f64 v[20:21], v[20:21], v[60:61]
	v_accvgpr_read_b32 v166, a72
	v_mul_f64 v[94:95], v[142:143], v[26:27]
	v_add_f64 v[20:21], v[20:21], v[154:155]
	v_mad_u64_u32 v[80:81], s[2:3], s10, v166, 0
	v_mul_f64 v[78:79], v[118:119], v[30:31]
	v_fmac_f64_e32 v[94:95], v[140:141], v[24:25]
	v_add_f64 v[24:25], v[20:21], v[158:159]
	v_add_f64 v[20:21], v[60:61], v[154:155]
	s_mov_b32 s4, 0x134454ff
	v_fmac_f64_e32 v[78:79], v[116:117], v[28:29]
	v_mul_f64 v[116:117], v[114:115], v[34:35]
	v_fma_f64 v[20:21], -0.5, v[20:21], v[0:1]
	v_add_f64 v[22:23], v[48:49], -v[160:161]
	s_mov_b32 s5, 0xbfee6f0e
	s_mov_b32 s2, 0x4755a5e
	;; [unrolled: 1-line block ×4, first 2 shown]
	v_fmac_f64_e32 v[116:117], v[112:113], v[32:33]
	v_fma_f64 v[28:29], s[4:5], v[22:23], v[20:21]
	v_add_f64 v[26:27], v[122:123], -v[156:157]
	s_mov_b32 s3, 0xbfe2cf23
	v_add_f64 v[30:31], v[44:45], -v[60:61]
	v_add_f64 v[32:33], v[158:159], -v[154:155]
	s_mov_b32 s6, 0x372fe950
	v_fmac_f64_e32 v[20:21], s[14:15], v[22:23]
	s_mov_b32 s17, 0x3fe2cf23
	s_mov_b32 s16, s2
	v_fmac_f64_e32 v[28:29], s[2:3], v[26:27]
	v_add_f64 v[30:31], v[30:31], v[32:33]
	s_mov_b32 s7, 0x3fd3c6ef
	v_fmac_f64_e32 v[20:21], s[16:17], v[26:27]
	v_fmac_f64_e32 v[28:29], s[6:7], v[30:31]
	;; [unrolled: 1-line block ×3, first 2 shown]
	v_add_f64 v[30:31], v[44:45], v[158:159]
	v_fmac_f64_e32 v[0:1], -0.5, v[30:31]
	v_fma_f64 v[32:33], s[14:15], v[26:27], v[0:1]
	v_fmac_f64_e32 v[0:1], s[4:5], v[26:27]
	v_fmac_f64_e32 v[32:33], s[2:3], v[22:23]
	;; [unrolled: 1-line block ×3, first 2 shown]
	v_add_f64 v[22:23], v[2:3], v[48:49]
	v_add_f64 v[22:23], v[22:23], v[122:123]
	;; [unrolled: 1-line block ×3, first 2 shown]
	v_add_f64 v[30:31], v[60:61], -v[44:45]
	v_add_f64 v[34:35], v[154:155], -v[158:159]
	v_add_f64 v[26:27], v[22:23], v[160:161]
	v_add_f64 v[22:23], v[122:123], v[156:157]
	v_mul_f64 v[92:93], v[130:131], v[42:43]
	v_add_f64 v[30:31], v[30:31], v[34:35]
	v_fma_f64 v[22:23], -0.5, v[22:23], v[2:3]
	v_add_f64 v[36:37], v[44:45], -v[158:159]
	v_fmac_f64_e32 v[92:93], v[128:129], v[40:41]
	v_fmac_f64_e32 v[32:33], s[6:7], v[30:31]
	;; [unrolled: 1-line block ×3, first 2 shown]
	v_fma_f64 v[30:31], s[14:15], v[36:37], v[22:23]
	v_add_f64 v[38:39], v[60:61], -v[154:155]
	v_add_f64 v[34:35], v[48:49], -v[122:123]
	;; [unrolled: 1-line block ×3, first 2 shown]
	v_fmac_f64_e32 v[22:23], s[4:5], v[36:37]
	v_fmac_f64_e32 v[30:31], s[16:17], v[38:39]
	v_add_f64 v[34:35], v[34:35], v[40:41]
	v_fmac_f64_e32 v[22:23], s[2:3], v[38:39]
	v_fmac_f64_e32 v[30:31], s[6:7], v[34:35]
	;; [unrolled: 1-line block ×3, first 2 shown]
	v_add_f64 v[34:35], v[48:49], v[160:161]
	v_fmac_f64_e32 v[2:3], -0.5, v[34:35]
	v_fma_f64 v[34:35], s[4:5], v[38:39], v[2:3]
	v_fmac_f64_e32 v[2:3], s[14:15], v[38:39]
	v_fmac_f64_e32 v[34:35], s[16:17], v[36:37]
	;; [unrolled: 1-line block ×3, first 2 shown]
	v_add_f64 v[36:37], v[4:5], v[46:47]
	v_add_f64 v[40:41], v[122:123], -v[48:49]
	v_add_f64 v[42:43], v[156:157], -v[160:161]
	v_add_f64 v[36:37], v[36:37], v[50:51]
	v_add_f64 v[40:41], v[40:41], v[42:43]
	;; [unrolled: 1-line block ×3, first 2 shown]
	v_fmac_f64_e32 v[34:35], s[6:7], v[40:41]
	v_fmac_f64_e32 v[2:3], s[6:7], v[40:41]
	v_add_f64 v[40:41], v[36:37], v[164:165]
	v_add_f64 v[36:37], v[50:51], v[162:163]
	v_fma_f64 v[36:37], -0.5, v[36:37], v[4:5]
	v_add_f64 v[38:39], v[52:53], -v[58:59]
	v_fma_f64 v[44:45], s[4:5], v[38:39], v[36:37]
	v_add_f64 v[42:43], v[54:55], -v[56:57]
	v_add_f64 v[48:49], v[46:47], -v[50:51]
	;; [unrolled: 1-line block ×3, first 2 shown]
	v_fmac_f64_e32 v[36:37], s[14:15], v[38:39]
	v_fmac_f64_e32 v[44:45], s[2:3], v[42:43]
	v_add_f64 v[48:49], v[48:49], v[60:61]
	v_fmac_f64_e32 v[36:37], s[16:17], v[42:43]
	v_fmac_f64_e32 v[44:45], s[6:7], v[48:49]
	;; [unrolled: 1-line block ×3, first 2 shown]
	v_add_f64 v[48:49], v[46:47], v[164:165]
	v_fmac_f64_e32 v[4:5], -0.5, v[48:49]
	v_fma_f64 v[48:49], s[14:15], v[42:43], v[4:5]
	v_fmac_f64_e32 v[4:5], s[4:5], v[42:43]
	v_fmac_f64_e32 v[48:49], s[2:3], v[38:39]
	;; [unrolled: 1-line block ×3, first 2 shown]
	v_add_f64 v[38:39], v[6:7], v[52:53]
	v_add_f64 v[38:39], v[38:39], v[54:55]
	v_add_f64 v[60:61], v[50:51], -v[46:47]
	v_add_f64 v[64:65], v[162:163], -v[164:165]
	v_add_f64 v[38:39], v[38:39], v[56:57]
	v_add_f64 v[60:61], v[60:61], v[64:65]
	;; [unrolled: 1-line block ×4, first 2 shown]
	v_fmac_f64_e32 v[48:49], s[6:7], v[60:61]
	v_fmac_f64_e32 v[4:5], s[6:7], v[60:61]
	v_fma_f64 v[38:39], -0.5, v[38:39], v[6:7]
	v_add_f64 v[60:61], v[46:47], -v[164:165]
	v_fma_f64 v[46:47], s[14:15], v[60:61], v[38:39]
	v_add_f64 v[64:65], v[50:51], -v[162:163]
	v_add_f64 v[50:51], v[52:53], -v[54:55]
	v_add_f64 v[112:113], v[58:59], -v[56:57]
	v_fmac_f64_e32 v[38:39], s[4:5], v[60:61]
	v_fmac_f64_e32 v[46:47], s[16:17], v[64:65]
	v_add_f64 v[50:51], v[50:51], v[112:113]
	v_fmac_f64_e32 v[38:39], s[2:3], v[64:65]
	v_fmac_f64_e32 v[46:47], s[6:7], v[50:51]
	;; [unrolled: 1-line block ×3, first 2 shown]
	v_add_f64 v[50:51], v[52:53], v[58:59]
	v_fmac_f64_e32 v[6:7], -0.5, v[50:51]
	v_fma_f64 v[50:51], s[4:5], v[64:65], v[6:7]
	v_add_f64 v[52:53], v[54:55], -v[52:53]
	v_add_f64 v[54:55], v[56:57], -v[58:59]
	v_fmac_f64_e32 v[6:7], s[14:15], v[64:65]
	v_fmac_f64_e32 v[50:51], s[16:17], v[60:61]
	v_add_f64 v[52:53], v[52:53], v[54:55]
	v_fmac_f64_e32 v[6:7], s[2:3], v[60:61]
	v_fmac_f64_e32 v[50:51], s[6:7], v[52:53]
	;; [unrolled: 1-line block ×3, first 2 shown]
	v_add_f64 v[52:53], v[12:13], v[62:63]
	v_add_f64 v[52:53], v[52:53], v[66:67]
	;; [unrolled: 1-line block ×5, first 2 shown]
	v_fma_f64 v[52:53], -0.5, v[52:53], v[12:13]
	v_add_f64 v[54:55], v[68:69], -v[74:75]
	v_fma_f64 v[60:61], s[4:5], v[54:55], v[52:53]
	v_add_f64 v[58:59], v[70:71], -v[72:73]
	v_add_f64 v[64:65], v[62:63], -v[66:67]
	;; [unrolled: 1-line block ×3, first 2 shown]
	v_fmac_f64_e32 v[52:53], s[14:15], v[54:55]
	v_fmac_f64_e32 v[60:61], s[2:3], v[58:59]
	v_add_f64 v[64:65], v[64:65], v[112:113]
	v_fmac_f64_e32 v[52:53], s[16:17], v[58:59]
	v_fmac_f64_e32 v[60:61], s[6:7], v[64:65]
	;; [unrolled: 1-line block ×3, first 2 shown]
	v_add_f64 v[64:65], v[62:63], v[144:145]
	v_fmac_f64_e32 v[12:13], -0.5, v[64:65]
	v_fma_f64 v[64:65], s[14:15], v[58:59], v[12:13]
	v_fmac_f64_e32 v[12:13], s[4:5], v[58:59]
	v_fmac_f64_e32 v[64:65], s[2:3], v[54:55]
	;; [unrolled: 1-line block ×3, first 2 shown]
	v_add_f64 v[54:55], v[14:15], v[68:69]
	v_add_f64 v[54:55], v[54:55], v[70:71]
	v_add_f64 v[112:113], v[66:67], -v[62:63]
	v_add_f64 v[114:115], v[76:77], -v[144:145]
	v_add_f64 v[54:55], v[54:55], v[72:73]
	v_add_f64 v[112:113], v[112:113], v[114:115]
	;; [unrolled: 1-line block ×4, first 2 shown]
	v_fmac_f64_e32 v[64:65], s[6:7], v[112:113]
	v_fmac_f64_e32 v[12:13], s[6:7], v[112:113]
	v_fma_f64 v[54:55], -0.5, v[54:55], v[14:15]
	v_add_f64 v[112:113], v[62:63], -v[144:145]
	v_fma_f64 v[62:63], s[14:15], v[112:113], v[54:55]
	v_add_f64 v[76:77], v[66:67], -v[76:77]
	v_add_f64 v[66:67], v[68:69], -v[70:71]
	;; [unrolled: 1-line block ×3, first 2 shown]
	v_fmac_f64_e32 v[54:55], s[4:5], v[112:113]
	v_fmac_f64_e32 v[62:63], s[16:17], v[76:77]
	v_add_f64 v[66:67], v[66:67], v[114:115]
	v_fmac_f64_e32 v[54:55], s[2:3], v[76:77]
	v_fmac_f64_e32 v[62:63], s[6:7], v[66:67]
	;; [unrolled: 1-line block ×3, first 2 shown]
	v_add_f64 v[66:67], v[68:69], v[74:75]
	v_fmac_f64_e32 v[14:15], -0.5, v[66:67]
	v_fma_f64 v[66:67], s[4:5], v[76:77], v[14:15]
	v_add_f64 v[68:69], v[70:71], -v[68:69]
	v_add_f64 v[70:71], v[72:73], -v[74:75]
	v_fmac_f64_e32 v[14:15], s[14:15], v[76:77]
	v_mul_f64 v[108:109], v[126:127], v[148:149]
	v_fmac_f64_e32 v[66:67], s[16:17], v[112:113]
	v_add_f64 v[68:69], v[68:69], v[70:71]
	v_fmac_f64_e32 v[14:15], s[2:3], v[112:113]
	v_fmac_f64_e32 v[108:109], v[124:125], v[146:147]
	;; [unrolled: 1-line block ×4, first 2 shown]
	v_add_f64 v[68:69], v[8:9], v[78:79]
	v_add_f64 v[68:69], v[68:69], v[108:109]
	;; [unrolled: 1-line block ×5, first 2 shown]
	v_fma_f64 v[68:69], -0.5, v[68:69], v[8:9]
	v_add_f64 v[70:71], v[100:101], -v[106:107]
	v_fma_f64 v[76:77], s[4:5], v[70:71], v[68:69]
	v_add_f64 v[74:75], v[102:103], -v[104:105]
	v_add_f64 v[112:113], v[78:79], -v[108:109]
	;; [unrolled: 1-line block ×3, first 2 shown]
	v_fmac_f64_e32 v[68:69], s[14:15], v[70:71]
	v_fmac_f64_e32 v[76:77], s[2:3], v[74:75]
	v_add_f64 v[112:113], v[112:113], v[114:115]
	v_fmac_f64_e32 v[68:69], s[16:17], v[74:75]
	v_fmac_f64_e32 v[76:77], s[6:7], v[112:113]
	v_fmac_f64_e32 v[68:69], s[6:7], v[112:113]
	v_add_f64 v[112:113], v[78:79], v[116:117]
	v_fmac_f64_e32 v[8:9], -0.5, v[112:113]
	v_fma_f64 v[112:113], s[14:15], v[74:75], v[8:9]
	v_fmac_f64_e32 v[8:9], s[4:5], v[74:75]
	v_fmac_f64_e32 v[112:113], s[2:3], v[70:71]
	;; [unrolled: 1-line block ×3, first 2 shown]
	v_add_f64 v[70:71], v[10:11], v[100:101]
	v_add_f64 v[70:71], v[70:71], v[102:103]
	;; [unrolled: 1-line block ×3, first 2 shown]
	v_add_f64 v[114:115], v[108:109], -v[78:79]
	v_add_f64 v[118:119], v[110:111], -v[116:117]
	v_add_f64 v[74:75], v[70:71], v[106:107]
	v_add_f64 v[70:71], v[102:103], v[104:105]
	;; [unrolled: 1-line block ×3, first 2 shown]
	v_fma_f64 v[70:71], -0.5, v[70:71], v[10:11]
	v_add_f64 v[116:117], v[78:79], -v[116:117]
	v_fmac_f64_e32 v[112:113], s[6:7], v[114:115]
	v_fmac_f64_e32 v[8:9], s[6:7], v[114:115]
	v_fma_f64 v[78:79], s[14:15], v[116:117], v[70:71]
	v_add_f64 v[108:109], v[108:109], -v[110:111]
	v_add_f64 v[110:111], v[100:101], -v[102:103]
	;; [unrolled: 1-line block ×3, first 2 shown]
	v_fmac_f64_e32 v[70:71], s[4:5], v[116:117]
	v_fmac_f64_e32 v[78:79], s[16:17], v[108:109]
	v_add_f64 v[110:111], v[110:111], v[114:115]
	v_fmac_f64_e32 v[70:71], s[2:3], v[108:109]
	v_fmac_f64_e32 v[78:79], s[6:7], v[110:111]
	;; [unrolled: 1-line block ×3, first 2 shown]
	v_add_f64 v[110:111], v[100:101], v[106:107]
	v_add_f64 v[100:101], v[102:103], -v[100:101]
	v_add_f64 v[102:103], v[104:105], -v[106:107]
	v_mul_f64 v[98:99], v[138:139], v[152:153]
	v_fmac_f64_e32 v[10:11], -0.5, v[110:111]
	v_add_f64 v[100:101], v[100:101], v[102:103]
	v_add_f64 v[102:103], v[94:95], v[96:97]
	v_fmac_f64_e32 v[98:99], v[136:137], v[150:151]
	v_fma_f64 v[114:115], s[4:5], v[108:109], v[10:11]
	v_fmac_f64_e32 v[10:11], s[14:15], v[108:109]
	v_fma_f64 v[104:105], -0.5, v[102:103], v[16:17]
	v_add_f64 v[102:103], v[84:85], -v[90:91]
	v_fmac_f64_e32 v[114:115], s[16:17], v[116:117]
	v_fmac_f64_e32 v[10:11], s[2:3], v[116:117]
	v_fma_f64 v[108:109], s[4:5], v[102:103], v[104:105]
	v_add_f64 v[106:107], v[86:87], -v[88:89]
	v_add_f64 v[110:111], v[92:93], -v[94:95]
	;; [unrolled: 1-line block ×3, first 2 shown]
	v_fmac_f64_e32 v[104:105], s[14:15], v[102:103]
	v_fmac_f64_e32 v[108:109], s[2:3], v[106:107]
	v_add_f64 v[110:111], v[110:111], v[116:117]
	v_fmac_f64_e32 v[104:105], s[16:17], v[106:107]
	v_fmac_f64_e32 v[108:109], s[6:7], v[110:111]
	;; [unrolled: 1-line block ×3, first 2 shown]
	v_add_f64 v[110:111], v[92:93], v[98:99]
	v_fmac_f64_e32 v[114:115], s[6:7], v[100:101]
	v_fmac_f64_e32 v[10:11], s[6:7], v[100:101]
	v_add_f64 v[100:101], v[16:17], v[92:93]
	v_fmac_f64_e32 v[16:17], -0.5, v[110:111]
	v_add_f64 v[100:101], v[100:101], v[94:95]
	v_fma_f64 v[116:117], s[14:15], v[106:107], v[16:17]
	v_add_f64 v[110:111], v[94:95], -v[92:93]
	v_add_f64 v[118:119], v[96:97], -v[98:99]
	v_fmac_f64_e32 v[16:17], s[4:5], v[106:107]
	v_add_f64 v[106:107], v[86:87], v[88:89]
	v_add_f64 v[100:101], v[100:101], v[96:97]
	v_fmac_f64_e32 v[116:117], s[2:3], v[102:103]
	v_add_f64 v[110:111], v[110:111], v[118:119]
	v_fmac_f64_e32 v[16:17], s[16:17], v[102:103]
	v_fma_f64 v[106:107], -0.5, v[106:107], v[18:19]
	v_add_f64 v[92:93], v[92:93], -v[98:99]
	v_add_f64 v[100:101], v[100:101], v[98:99]
	v_fmac_f64_e32 v[116:117], s[6:7], v[110:111]
	v_fmac_f64_e32 v[16:17], s[6:7], v[110:111]
	v_fma_f64 v[110:111], s[14:15], v[92:93], v[106:107]
	v_add_f64 v[94:95], v[94:95], -v[96:97]
	v_add_f64 v[96:97], v[84:85], -v[86:87]
	;; [unrolled: 1-line block ×3, first 2 shown]
	v_fmac_f64_e32 v[106:107], s[4:5], v[92:93]
	v_fmac_f64_e32 v[110:111], s[16:17], v[94:95]
	v_add_f64 v[96:97], v[96:97], v[98:99]
	v_fmac_f64_e32 v[106:107], s[2:3], v[94:95]
	v_fmac_f64_e32 v[110:111], s[6:7], v[96:97]
	v_fmac_f64_e32 v[106:107], s[6:7], v[96:97]
	v_add_f64 v[96:97], v[84:85], v[90:91]
	v_add_f64 v[102:103], v[18:19], v[84:85]
	v_fmac_f64_e32 v[18:19], -0.5, v[96:97]
	v_add_f64 v[102:103], v[102:103], v[86:87]
	v_fma_f64 v[118:119], s[4:5], v[94:95], v[18:19]
	v_add_f64 v[84:85], v[86:87], -v[84:85]
	v_add_f64 v[86:87], v[88:89], -v[90:91]
	v_fmac_f64_e32 v[18:19], s[14:15], v[94:95]
	v_mov_b32_e32 v82, v81
	v_add_f64 v[102:103], v[102:103], v[88:89]
	v_fmac_f64_e32 v[118:119], s[16:17], v[92:93]
	v_add_f64 v[84:85], v[84:85], v[86:87]
	v_fmac_f64_e32 v[18:19], s[2:3], v[92:93]
	;; [unrolled: 2-line block ×3, first 2 shown]
	v_fmac_f64_e32 v[18:19], s[6:7], v[84:85]
	ds_write_b128 v120, v[24:27]
	ds_write_b128 v120, v[28:31] offset:5040
	ds_write_b128 v120, v[32:35] offset:10080
	;; [unrolled: 1-line block ×24, first 2 shown]
	v_mad_u64_u32 v[4:5], s[2:3], s11, v166, v[82:83]
	s_waitcnt lgkmcnt(0)
	; wave barrier
	s_waitcnt lgkmcnt(0)
	ds_read_b128 v[0:3], v120
	v_mov_b32_e32 v81, v4
	ds_read_b128 v[4:7], v120 offset:1008
	buffer_load_dword v10, off, s[40:43], 0 offset:260 ; 4-byte Folded Reload
	buffer_load_dword v11, off, s[40:43], 0 offset:264 ; 4-byte Folded Reload
	;; [unrolled: 1-line block ×3, first 2 shown]
	s_mov_b32 s2, 0xae67b348
	s_mov_b32 s3, 0x3f44ce19
	s_mul_hi_u32 s7, s8, 0xfffffc25
	s_mul_i32 s6, s9, 0xfffffc25
	s_sub_i32 s7, s7, s8
	s_add_i32 s7, s7, s6
	s_mul_i32 s6, s8, 0xfffffc25
	s_lshl_b64 s[6:7], s[6:7], 4
	s_waitcnt vmcnt(0)
	v_accvgpr_read_b32 v13, a39             ;  Reload Reuse
	s_waitcnt lgkmcnt(1)
	v_mul_f64 v[8:9], v[12:13], v[2:3]
	v_fmac_f64_e32 v[8:9], v[10:11], v[0:1]
	v_mul_f64 v[0:1], v[12:13], v[0:1]
	v_fma_f64 v[0:1], v[10:11], v[2:3], -v[0:1]
	v_accvgpr_read_b32 v3, a2
	v_mul_f64 v[10:11], v[0:1], s[2:3]
	v_mad_u64_u32 v[0:1], s[4:5], s8, v3, 0
	v_mov_b32_e32 v2, v1
	v_mad_u64_u32 v[2:3], s[4:5], s9, v3, v[2:3]
	v_mov_b32_e32 v1, v2
	v_lshlrev_b64 v[2:3], 4, v[80:81]
	v_mov_b32_e32 v12, s13
	v_add_co_u32_e32 v14, vcc, s12, v2
	v_addc_co_u32_e32 v15, vcc, v12, v3, vcc
	v_lshlrev_b64 v[12:13], 4, v[0:1]
	v_add_co_u32_e32 v20, vcc, v14, v12
	v_mul_f64 v[8:9], v[8:9], s[2:3]
	v_addc_co_u32_e32 v21, vcc, v15, v13, vcc
	global_store_dwordx4 v[20:21], v[8:11], off
	ds_read_b128 v[0:3], v120 offset:8400
	ds_read_b128 v[8:11], v120 offset:9408
	buffer_load_dword v14, off, s[40:43], 0 offset:228 ; 4-byte Folded Reload
	buffer_load_dword v15, off, s[40:43], 0 offset:232 ; 4-byte Folded Reload
	;; [unrolled: 1-line block ×4, first 2 shown]
	s_mul_i32 s4, s9, 0x20d
	s_mul_hi_u32 s5, s8, 0x20d
	s_add_i32 s5, s5, s4
	s_mul_i32 s4, s8, 0x20d
	s_lshl_b64 s[4:5], s[4:5], 4
	s_waitcnt vmcnt(0) lgkmcnt(1)
	v_mul_f64 v[12:13], v[16:17], v[2:3]
	v_fmac_f64_e32 v[12:13], v[14:15], v[0:1]
	v_mul_f64 v[0:1], v[16:17], v[0:1]
	v_fma_f64 v[0:1], v[14:15], v[2:3], -v[0:1]
	v_mul_f64 v[14:15], v[0:1], s[2:3]
	v_mov_b32_e32 v1, s5
	v_add_co_u32_e32 v2, vcc, s4, v20
	v_mul_f64 v[12:13], v[12:13], s[2:3]
	v_addc_co_u32_e32 v3, vcc, v21, v1, vcc
	global_store_dwordx4 v[2:3], v[12:15], off
	ds_read_b128 v[16:19], v120 offset:16800
	ds_read_b128 v[12:15], v120 offset:17808
	buffer_load_dword v22, off, s[40:43], 0 offset:196 ; 4-byte Folded Reload
	buffer_load_dword v23, off, s[40:43], 0 offset:200 ; 4-byte Folded Reload
	;; [unrolled: 1-line block ×4, first 2 shown]
	v_mov_b32_e32 v0, s7
	s_waitcnt vmcnt(0) lgkmcnt(1)
	v_mul_f64 v[20:21], v[24:25], v[18:19]
	v_fmac_f64_e32 v[20:21], v[22:23], v[16:17]
	v_mul_f64 v[16:17], v[24:25], v[16:17]
	v_fma_f64 v[16:17], v[22:23], v[18:19], -v[16:17]
	v_mul_f64 v[22:23], v[16:17], s[2:3]
	v_add_co_u32_e32 v16, vcc, s4, v2
	v_mul_f64 v[20:21], v[20:21], s[2:3]
	v_addc_co_u32_e32 v17, vcc, v3, v1, vcc
	global_store_dwordx4 v[16:17], v[20:23], off
	buffer_load_dword v18, off, s[40:43], 0 offset:180 ; 4-byte Folded Reload
	s_nop 0
	buffer_load_dword v19, off, s[40:43], 0 offset:184 ; 4-byte Folded Reload
	buffer_load_dword v20, off, s[40:43], 0 offset:188 ; 4-byte Folded Reload
	;; [unrolled: 1-line block ×3, first 2 shown]
	v_accvgpr_read_b32 v24, a98
	v_accvgpr_read_b32 v26, a100
	;; [unrolled: 1-line block ×4, first 2 shown]
	s_waitcnt vmcnt(0)
	v_mul_f64 v[2:3], v[20:21], v[6:7]
	v_fmac_f64_e32 v[2:3], v[18:19], v[4:5]
	v_mul_f64 v[4:5], v[20:21], v[4:5]
	v_fma_f64 v[4:5], v[18:19], v[6:7], -v[4:5]
	v_add_co_u32_e32 v6, vcc, s6, v16
	v_mul_f64 v[2:3], v[2:3], s[2:3]
	v_mul_f64 v[4:5], v[4:5], s[2:3]
	v_addc_co_u32_e32 v7, vcc, v17, v0, vcc
	global_store_dwordx4 v[6:7], v[2:5], off
	buffer_load_dword v16, off, s[40:43], 0 offset:100 ; 4-byte Folded Reload
	buffer_load_dword v17, off, s[40:43], 0 offset:104 ; 4-byte Folded Reload
	;; [unrolled: 1-line block ×4, first 2 shown]
	v_accvgpr_read_b32 v23, a7
	v_accvgpr_read_b32 v22, a6
	v_accvgpr_read_b32 v21, a5
	v_accvgpr_read_b32 v20, a4
	s_waitcnt vmcnt(0)
	v_mul_f64 v[2:3], v[18:19], v[10:11]
	v_mul_f64 v[4:5], v[18:19], v[8:9]
	v_fmac_f64_e32 v[2:3], v[16:17], v[8:9]
	v_fma_f64 v[4:5], v[16:17], v[10:11], -v[4:5]
	v_add_co_u32_e32 v10, vcc, s4, v6
	v_mul_f64 v[2:3], v[2:3], s[2:3]
	v_mul_f64 v[4:5], v[4:5], s[2:3]
	v_addc_co_u32_e32 v11, vcc, v7, v1, vcc
	global_store_dwordx4 v[10:11], v[2:5], off
	buffer_load_dword v6, off, s[40:43], 0 offset:68 ; 4-byte Folded Reload
	buffer_load_dword v7, off, s[40:43], 0 offset:72 ; 4-byte Folded Reload
	;; [unrolled: 1-line block ×4, first 2 shown]
	s_waitcnt vmcnt(0) lgkmcnt(0)
	v_mul_f64 v[2:3], v[8:9], v[14:15]
	v_mul_f64 v[4:5], v[8:9], v[12:13]
	v_fmac_f64_e32 v[2:3], v[6:7], v[12:13]
	v_fma_f64 v[4:5], v[6:7], v[14:15], -v[4:5]
	v_add_co_u32_e32 v14, vcc, s4, v10
	v_mul_f64 v[2:3], v[2:3], s[2:3]
	v_mul_f64 v[4:5], v[4:5], s[2:3]
	v_addc_co_u32_e32 v15, vcc, v11, v1, vcc
	global_store_dwordx4 v[14:15], v[2:5], off
	ds_read_b128 v[6:9], v120 offset:2016
	ds_read_b128 v[2:5], v120 offset:3024
	buffer_load_dword v16, off, s[40:43], 0 offset:52 ; 4-byte Folded Reload
	buffer_load_dword v17, off, s[40:43], 0 offset:56 ; 4-byte Folded Reload
	;; [unrolled: 1-line block ×4, first 2 shown]
	s_waitcnt vmcnt(0) lgkmcnt(1)
	v_mul_f64 v[10:11], v[18:19], v[8:9]
	v_fmac_f64_e32 v[10:11], v[16:17], v[6:7]
	v_mul_f64 v[6:7], v[18:19], v[6:7]
	v_fma_f64 v[6:7], v[16:17], v[8:9], -v[6:7]
	v_mul_f64 v[12:13], v[6:7], s[2:3]
	ds_read_b128 v[6:9], v120 offset:10416
	v_add_co_u32_e32 v18, vcc, s6, v14
	v_mul_f64 v[10:11], v[10:11], s[2:3]
	v_addc_co_u32_e32 v19, vcc, v15, v0, vcc
	global_store_dwordx4 v[18:19], v[10:13], off
	ds_read_b128 v[10:13], v120 offset:11424
	s_waitcnt lgkmcnt(1)
	v_mul_f64 v[14:15], v[22:23], v[8:9]
	v_fmac_f64_e32 v[14:15], v[20:21], v[6:7]
	v_mul_f64 v[6:7], v[22:23], v[6:7]
	v_fma_f64 v[6:7], v[20:21], v[8:9], -v[6:7]
	v_mul_f64 v[16:17], v[6:7], s[2:3]
	ds_read_b128 v[6:9], v120 offset:18816
	v_add_co_u32_e32 v22, vcc, s4, v18
	v_mul_f64 v[14:15], v[14:15], s[2:3]
	v_addc_co_u32_e32 v23, vcc, v19, v1, vcc
	global_store_dwordx4 v[22:23], v[14:17], off
	ds_read_b128 v[14:17], v120 offset:19824
	s_waitcnt lgkmcnt(1)
	v_mul_f64 v[18:19], v[26:27], v[8:9]
	v_fmac_f64_e32 v[18:19], v[24:25], v[6:7]
	v_mul_f64 v[6:7], v[26:27], v[6:7]
	v_fma_f64 v[6:7], v[24:25], v[8:9], -v[6:7]
	v_add_co_u32_e32 v22, vcc, s4, v22
	v_mul_f64 v[18:19], v[18:19], s[2:3]
	v_mul_f64 v[20:21], v[6:7], s[2:3]
	v_addc_co_u32_e32 v23, vcc, v23, v1, vcc
	global_store_dwordx4 v[22:23], v[18:21], off
	buffer_load_dword v18, off, s[40:43], 0 offset:404 ; 4-byte Folded Reload
	s_nop 0
	buffer_load_dword v19, off, s[40:43], 0 offset:408 ; 4-byte Folded Reload
	buffer_load_dword v20, off, s[40:43], 0 offset:412 ; 4-byte Folded Reload
	;; [unrolled: 1-line block ×3, first 2 shown]
	s_waitcnt vmcnt(0)
	v_mul_f64 v[6:7], v[20:21], v[4:5]
	v_fmac_f64_e32 v[6:7], v[18:19], v[2:3]
	v_mul_f64 v[2:3], v[20:21], v[2:3]
	v_fma_f64 v[2:3], v[18:19], v[4:5], -v[2:3]
	v_add_co_u32_e32 v18, vcc, s6, v22
	v_mul_f64 v[6:7], v[6:7], s[2:3]
	v_mul_f64 v[8:9], v[2:3], s[2:3]
	v_addc_co_u32_e32 v19, vcc, v23, v0, vcc
	global_store_dwordx4 v[18:19], v[6:9], off
	buffer_load_dword v6, off, s[40:43], 0 offset:388 ; 4-byte Folded Reload
	s_nop 0
	buffer_load_dword v7, off, s[40:43], 0 offset:392 ; 4-byte Folded Reload
	buffer_load_dword v8, off, s[40:43], 0 offset:396 ; 4-byte Folded Reload
	;; [unrolled: 1-line block ×3, first 2 shown]
	s_waitcnt vmcnt(0)
	v_mul_f64 v[2:3], v[8:9], v[12:13]
	v_mul_f64 v[4:5], v[8:9], v[10:11]
	v_fmac_f64_e32 v[2:3], v[6:7], v[10:11]
	v_fma_f64 v[4:5], v[6:7], v[12:13], -v[4:5]
	v_add_co_u32_e32 v10, vcc, s4, v18
	v_mul_f64 v[2:3], v[2:3], s[2:3]
	v_mul_f64 v[4:5], v[4:5], s[2:3]
	v_addc_co_u32_e32 v11, vcc, v19, v1, vcc
	global_store_dwordx4 v[10:11], v[2:5], off
	buffer_load_dword v6, off, s[40:43], 0 offset:372 ; 4-byte Folded Reload
	buffer_load_dword v7, off, s[40:43], 0 offset:376 ; 4-byte Folded Reload
	;; [unrolled: 1-line block ×4, first 2 shown]
	s_waitcnt vmcnt(0) lgkmcnt(0)
	v_mul_f64 v[2:3], v[8:9], v[16:17]
	v_mul_f64 v[4:5], v[8:9], v[14:15]
	v_fmac_f64_e32 v[2:3], v[6:7], v[14:15]
	v_fma_f64 v[4:5], v[6:7], v[16:17], -v[4:5]
	v_add_co_u32_e32 v14, vcc, s4, v10
	v_mul_f64 v[2:3], v[2:3], s[2:3]
	v_mul_f64 v[4:5], v[4:5], s[2:3]
	v_addc_co_u32_e32 v15, vcc, v11, v1, vcc
	global_store_dwordx4 v[14:15], v[2:5], off
	ds_read_b128 v[6:9], v120 offset:4032
	ds_read_b128 v[2:5], v120 offset:5040
	buffer_load_dword v16, off, s[40:43], 0 offset:356 ; 4-byte Folded Reload
	buffer_load_dword v17, off, s[40:43], 0 offset:360 ; 4-byte Folded Reload
	;; [unrolled: 1-line block ×4, first 2 shown]
	s_waitcnt vmcnt(0) lgkmcnt(1)
	v_mul_f64 v[10:11], v[18:19], v[8:9]
	v_fmac_f64_e32 v[10:11], v[16:17], v[6:7]
	v_mul_f64 v[6:7], v[18:19], v[6:7]
	v_fma_f64 v[6:7], v[16:17], v[8:9], -v[6:7]
	v_add_co_u32_e32 v18, vcc, s6, v14
	v_mul_f64 v[10:11], v[10:11], s[2:3]
	v_mul_f64 v[12:13], v[6:7], s[2:3]
	v_addc_co_u32_e32 v19, vcc, v15, v0, vcc
	global_store_dwordx4 v[18:19], v[10:13], off
	ds_read_b128 v[6:9], v120 offset:12432
	ds_read_b128 v[10:13], v120 offset:13440
	buffer_load_dword v20, off, s[40:43], 0 offset:340 ; 4-byte Folded Reload
	buffer_load_dword v21, off, s[40:43], 0 offset:344 ; 4-byte Folded Reload
	;; [unrolled: 1-line block ×4, first 2 shown]
	s_waitcnt vmcnt(0) lgkmcnt(1)
	v_mul_f64 v[14:15], v[22:23], v[8:9]
	v_fmac_f64_e32 v[14:15], v[20:21], v[6:7]
	v_mul_f64 v[6:7], v[22:23], v[6:7]
	v_fma_f64 v[6:7], v[20:21], v[8:9], -v[6:7]
	v_add_co_u32_e32 v22, vcc, s4, v18
	v_mul_f64 v[14:15], v[14:15], s[2:3]
	v_mul_f64 v[16:17], v[6:7], s[2:3]
	v_addc_co_u32_e32 v23, vcc, v19, v1, vcc
	global_store_dwordx4 v[22:23], v[14:17], off
	ds_read_b128 v[6:9], v120 offset:20832
	ds_read_b128 v[14:17], v120 offset:21840
	buffer_load_dword v24, off, s[40:43], 0 offset:324 ; 4-byte Folded Reload
	buffer_load_dword v25, off, s[40:43], 0 offset:328 ; 4-byte Folded Reload
	;; [unrolled: 1-line block ×4, first 2 shown]
	v_add_co_u32_e32 v22, vcc, s4, v22
	v_addc_co_u32_e32 v23, vcc, v23, v1, vcc
	s_waitcnt vmcnt(0) lgkmcnt(1)
	v_mul_f64 v[18:19], v[26:27], v[8:9]
	v_fmac_f64_e32 v[18:19], v[24:25], v[6:7]
	v_mul_f64 v[6:7], v[26:27], v[6:7]
	v_fma_f64 v[6:7], v[24:25], v[8:9], -v[6:7]
	v_mul_f64 v[18:19], v[18:19], s[2:3]
	v_mul_f64 v[20:21], v[6:7], s[2:3]
	global_store_dwordx4 v[22:23], v[18:21], off
	buffer_load_dword v18, off, s[40:43], 0 offset:308 ; 4-byte Folded Reload
	s_nop 0
	buffer_load_dword v19, off, s[40:43], 0 offset:312 ; 4-byte Folded Reload
	buffer_load_dword v20, off, s[40:43], 0 offset:316 ; 4-byte Folded Reload
	;; [unrolled: 1-line block ×3, first 2 shown]
	s_waitcnt vmcnt(0)
	v_mul_f64 v[6:7], v[20:21], v[4:5]
	v_fmac_f64_e32 v[6:7], v[18:19], v[2:3]
	v_mul_f64 v[2:3], v[20:21], v[2:3]
	v_fma_f64 v[2:3], v[18:19], v[4:5], -v[2:3]
	v_add_co_u32_e32 v18, vcc, s6, v22
	v_mul_f64 v[6:7], v[6:7], s[2:3]
	v_mul_f64 v[8:9], v[2:3], s[2:3]
	v_addc_co_u32_e32 v19, vcc, v23, v0, vcc
	global_store_dwordx4 v[18:19], v[6:9], off
	buffer_load_dword v6, off, s[40:43], 0 offset:292 ; 4-byte Folded Reload
	s_nop 0
	buffer_load_dword v7, off, s[40:43], 0 offset:296 ; 4-byte Folded Reload
	buffer_load_dword v8, off, s[40:43], 0 offset:300 ; 4-byte Folded Reload
	;; [unrolled: 1-line block ×3, first 2 shown]
	s_waitcnt vmcnt(0)
	v_mul_f64 v[2:3], v[8:9], v[12:13]
	v_mul_f64 v[4:5], v[8:9], v[10:11]
	v_fmac_f64_e32 v[2:3], v[6:7], v[10:11]
	v_fma_f64 v[4:5], v[6:7], v[12:13], -v[4:5]
	v_add_co_u32_e32 v10, vcc, s4, v18
	v_mul_f64 v[2:3], v[2:3], s[2:3]
	v_mul_f64 v[4:5], v[4:5], s[2:3]
	v_addc_co_u32_e32 v11, vcc, v19, v1, vcc
	global_store_dwordx4 v[10:11], v[2:5], off
	buffer_load_dword v6, off, s[40:43], 0 offset:276 ; 4-byte Folded Reload
	buffer_load_dword v7, off, s[40:43], 0 offset:280 ; 4-byte Folded Reload
	;; [unrolled: 1-line block ×4, first 2 shown]
	s_waitcnt vmcnt(0) lgkmcnt(0)
	v_mul_f64 v[2:3], v[8:9], v[16:17]
	v_mul_f64 v[4:5], v[8:9], v[14:15]
	v_fmac_f64_e32 v[2:3], v[6:7], v[14:15]
	v_fma_f64 v[4:5], v[6:7], v[16:17], -v[4:5]
	v_add_co_u32_e32 v14, vcc, s4, v10
	v_mul_f64 v[2:3], v[2:3], s[2:3]
	v_mul_f64 v[4:5], v[4:5], s[2:3]
	v_addc_co_u32_e32 v15, vcc, v11, v1, vcc
	global_store_dwordx4 v[14:15], v[2:5], off
	ds_read_b128 v[6:9], v120 offset:6048
	ds_read_b128 v[2:5], v120 offset:7056
	buffer_load_dword v16, off, s[40:43], 0 offset:244 ; 4-byte Folded Reload
	buffer_load_dword v17, off, s[40:43], 0 offset:248 ; 4-byte Folded Reload
	;; [unrolled: 1-line block ×4, first 2 shown]
	s_waitcnt vmcnt(0) lgkmcnt(1)
	v_mul_f64 v[10:11], v[18:19], v[8:9]
	v_fmac_f64_e32 v[10:11], v[16:17], v[6:7]
	v_mul_f64 v[6:7], v[18:19], v[6:7]
	v_fma_f64 v[6:7], v[16:17], v[8:9], -v[6:7]
	v_add_co_u32_e32 v18, vcc, s6, v14
	v_mul_f64 v[10:11], v[10:11], s[2:3]
	v_mul_f64 v[12:13], v[6:7], s[2:3]
	v_addc_co_u32_e32 v19, vcc, v15, v0, vcc
	global_store_dwordx4 v[18:19], v[10:13], off
	ds_read_b128 v[6:9], v120 offset:14448
	ds_read_b128 v[10:13], v120 offset:15456
	buffer_load_dword v20, off, s[40:43], 0 offset:212 ; 4-byte Folded Reload
	buffer_load_dword v21, off, s[40:43], 0 offset:216 ; 4-byte Folded Reload
	;; [unrolled: 1-line block ×4, first 2 shown]
	s_waitcnt vmcnt(0) lgkmcnt(1)
	v_mul_f64 v[14:15], v[22:23], v[8:9]
	v_fmac_f64_e32 v[14:15], v[20:21], v[6:7]
	v_mul_f64 v[6:7], v[22:23], v[6:7]
	v_fma_f64 v[6:7], v[20:21], v[8:9], -v[6:7]
	v_add_co_u32_e32 v22, vcc, s4, v18
	v_mul_f64 v[14:15], v[14:15], s[2:3]
	v_mul_f64 v[16:17], v[6:7], s[2:3]
	v_addc_co_u32_e32 v23, vcc, v19, v1, vcc
	global_store_dwordx4 v[22:23], v[14:17], off
	ds_read_b128 v[6:9], v120 offset:22848
	ds_read_b128 v[14:17], v120 offset:23856
	buffer_load_dword v24, off, s[40:43], 0 offset:164 ; 4-byte Folded Reload
	buffer_load_dword v25, off, s[40:43], 0 offset:168 ; 4-byte Folded Reload
	;; [unrolled: 1-line block ×4, first 2 shown]
	v_add_co_u32_e32 v22, vcc, s4, v22
	v_addc_co_u32_e32 v23, vcc, v23, v1, vcc
	s_waitcnt vmcnt(0) lgkmcnt(1)
	v_mul_f64 v[18:19], v[26:27], v[8:9]
	v_fmac_f64_e32 v[18:19], v[24:25], v[6:7]
	v_mul_f64 v[6:7], v[26:27], v[6:7]
	v_fma_f64 v[6:7], v[24:25], v[8:9], -v[6:7]
	v_mul_f64 v[18:19], v[18:19], s[2:3]
	v_mul_f64 v[20:21], v[6:7], s[2:3]
	global_store_dwordx4 v[22:23], v[18:21], off
	buffer_load_dword v18, off, s[40:43], 0 offset:132 ; 4-byte Folded Reload
	s_nop 0
	buffer_load_dword v19, off, s[40:43], 0 offset:136 ; 4-byte Folded Reload
	buffer_load_dword v20, off, s[40:43], 0 offset:140 ; 4-byte Folded Reload
	;; [unrolled: 1-line block ×3, first 2 shown]
	s_waitcnt vmcnt(0)
	v_mul_f64 v[6:7], v[20:21], v[4:5]
	v_fmac_f64_e32 v[6:7], v[18:19], v[2:3]
	v_mul_f64 v[2:3], v[20:21], v[2:3]
	v_fma_f64 v[2:3], v[18:19], v[4:5], -v[2:3]
	v_add_co_u32_e32 v18, vcc, s6, v22
	v_mul_f64 v[6:7], v[6:7], s[2:3]
	v_mul_f64 v[8:9], v[2:3], s[2:3]
	v_addc_co_u32_e32 v19, vcc, v23, v0, vcc
	global_store_dwordx4 v[18:19], v[6:9], off
	buffer_load_dword v6, off, s[40:43], 0 offset:116 ; 4-byte Folded Reload
	s_nop 0
	buffer_load_dword v7, off, s[40:43], 0 offset:120 ; 4-byte Folded Reload
	buffer_load_dword v8, off, s[40:43], 0 offset:124 ; 4-byte Folded Reload
	;; [unrolled: 1-line block ×3, first 2 shown]
	s_waitcnt vmcnt(0)
	v_mul_f64 v[2:3], v[8:9], v[12:13]
	v_mul_f64 v[4:5], v[8:9], v[10:11]
	v_fmac_f64_e32 v[2:3], v[6:7], v[10:11]
	v_fma_f64 v[4:5], v[6:7], v[12:13], -v[4:5]
	v_add_co_u32_e32 v6, vcc, s4, v18
	v_mul_f64 v[2:3], v[2:3], s[2:3]
	v_mul_f64 v[4:5], v[4:5], s[2:3]
	v_addc_co_u32_e32 v7, vcc, v19, v1, vcc
	global_store_dwordx4 v[6:7], v[2:5], off
	buffer_load_dword v8, off, s[40:43], 0 offset:84 ; 4-byte Folded Reload
	buffer_load_dword v9, off, s[40:43], 0 offset:88 ; 4-byte Folded Reload
	;; [unrolled: 1-line block ×4, first 2 shown]
	v_add_co_u32_e32 v0, vcc, s4, v6
	v_addc_co_u32_e32 v1, vcc, v7, v1, vcc
	s_waitcnt vmcnt(0) lgkmcnt(0)
	v_mul_f64 v[2:3], v[10:11], v[16:17]
	v_mul_f64 v[4:5], v[10:11], v[14:15]
	v_fmac_f64_e32 v[2:3], v[8:9], v[14:15]
	v_fma_f64 v[4:5], v[8:9], v[16:17], -v[4:5]
	v_mul_f64 v[2:3], v[2:3], s[2:3]
	v_mul_f64 v[4:5], v[4:5], s[2:3]
	global_store_dwordx4 v[0:1], v[2:5], off
	s_and_b64 exec, exec, s[0:1]
	s_cbranch_execz .LBB0_31
; %bb.30:
	buffer_load_dword v19, off, s[40:43], 0 offset:160 ; 4-byte Folded Reload
	v_accvgpr_read_b32 v18, a0
	v_add_co_u32_e32 v2, vcc, 0x1000, v18
	v_mov_b32_e32 v15, s7
	s_movk_i32 s0, 0x4000
	s_waitcnt vmcnt(0)
	v_addc_co_u32_e32 v3, vcc, 0, v19, vcc
	global_load_dwordx4 v[2:5], v[2:3], off offset:3968
	ds_read_b128 v[6:9], v120 offset:8064
	ds_read_b128 v[10:13], v120 offset:16464
	v_add_co_u32_e32 v14, vcc, s6, v0
	v_addc_co_u32_e32 v15, vcc, v1, v15, vcc
	v_add_co_u32_e32 v16, vcc, s0, v18
	v_addc_co_u32_e32 v17, vcc, 0, v19, vcc
	s_movk_i32 s0, 0x6000
	s_waitcnt vmcnt(0) lgkmcnt(1)
	v_mul_f64 v[0:1], v[8:9], v[4:5]
	v_mul_f64 v[4:5], v[6:7], v[4:5]
	v_fmac_f64_e32 v[0:1], v[6:7], v[2:3]
	v_fma_f64 v[2:3], v[2:3], v[8:9], -v[4:5]
	v_mul_f64 v[0:1], v[0:1], s[2:3]
	v_mul_f64 v[2:3], v[2:3], s[2:3]
	global_store_dwordx4 v[14:15], v[0:3], off
	global_load_dwordx4 v[0:3], v[16:17], off offset:80
	v_add_co_u32_e32 v4, vcc, s0, v18
	v_addc_co_u32_e32 v5, vcc, 0, v19, vcc
	v_mov_b32_e32 v16, s5
	v_add_co_u32_e32 v8, vcc, s4, v14
	v_addc_co_u32_e32 v9, vcc, v15, v16, vcc
	s_waitcnt vmcnt(0) lgkmcnt(0)
	v_mul_f64 v[6:7], v[12:13], v[2:3]
	v_mul_f64 v[2:3], v[10:11], v[2:3]
	v_fmac_f64_e32 v[6:7], v[10:11], v[0:1]
	v_fma_f64 v[2:3], v[0:1], v[12:13], -v[2:3]
	v_mul_f64 v[0:1], v[6:7], s[2:3]
	v_mul_f64 v[2:3], v[2:3], s[2:3]
	global_store_dwordx4 v[8:9], v[0:3], off
	global_load_dwordx4 v[0:3], v[4:5], off offset:288
	ds_read_b128 v[4:7], v120 offset:24864
	s_waitcnt vmcnt(0) lgkmcnt(0)
	v_mul_f64 v[10:11], v[6:7], v[2:3]
	v_mul_f64 v[2:3], v[4:5], v[2:3]
	v_fmac_f64_e32 v[10:11], v[4:5], v[0:1]
	v_fma_f64 v[2:3], v[0:1], v[6:7], -v[2:3]
	v_add_co_u32_e32 v4, vcc, s4, v8
	v_mul_f64 v[0:1], v[10:11], s[2:3]
	v_mul_f64 v[2:3], v[2:3], s[2:3]
	v_addc_co_u32_e32 v5, vcc, v9, v16, vcc
	global_store_dwordx4 v[4:5], v[0:3], off
.LBB0_31:
	s_endpgm
	.section	.rodata,"a",@progbits
	.p2align	6, 0x0
	.amdhsa_kernel bluestein_single_back_len1575_dim1_dp_op_CI_CI
		.amdhsa_group_segment_fixed_size 25200
		.amdhsa_private_segment_fixed_size 432
		.amdhsa_kernarg_size 104
		.amdhsa_user_sgpr_count 6
		.amdhsa_user_sgpr_private_segment_buffer 1
		.amdhsa_user_sgpr_dispatch_ptr 0
		.amdhsa_user_sgpr_queue_ptr 0
		.amdhsa_user_sgpr_kernarg_segment_ptr 1
		.amdhsa_user_sgpr_dispatch_id 0
		.amdhsa_user_sgpr_flat_scratch_init 0
		.amdhsa_user_sgpr_kernarg_preload_length 0
		.amdhsa_user_sgpr_kernarg_preload_offset 0
		.amdhsa_user_sgpr_private_segment_size 0
		.amdhsa_uses_dynamic_stack 0
		.amdhsa_system_sgpr_private_segment_wavefront_offset 1
		.amdhsa_system_sgpr_workgroup_id_x 1
		.amdhsa_system_sgpr_workgroup_id_y 0
		.amdhsa_system_sgpr_workgroup_id_z 0
		.amdhsa_system_sgpr_workgroup_info 0
		.amdhsa_system_vgpr_workitem_id 0
		.amdhsa_next_free_vgpr 512
		.amdhsa_next_free_sgpr 44
		.amdhsa_accum_offset 256
		.amdhsa_reserve_vcc 1
		.amdhsa_reserve_flat_scratch 0
		.amdhsa_float_round_mode_32 0
		.amdhsa_float_round_mode_16_64 0
		.amdhsa_float_denorm_mode_32 3
		.amdhsa_float_denorm_mode_16_64 3
		.amdhsa_dx10_clamp 1
		.amdhsa_ieee_mode 1
		.amdhsa_fp16_overflow 0
		.amdhsa_tg_split 0
		.amdhsa_exception_fp_ieee_invalid_op 0
		.amdhsa_exception_fp_denorm_src 0
		.amdhsa_exception_fp_ieee_div_zero 0
		.amdhsa_exception_fp_ieee_overflow 0
		.amdhsa_exception_fp_ieee_underflow 0
		.amdhsa_exception_fp_ieee_inexact 0
		.amdhsa_exception_int_div_zero 0
	.end_amdhsa_kernel
	.text
.Lfunc_end0:
	.size	bluestein_single_back_len1575_dim1_dp_op_CI_CI, .Lfunc_end0-bluestein_single_back_len1575_dim1_dp_op_CI_CI
                                        ; -- End function
	.section	.AMDGPU.csdata,"",@progbits
; Kernel info:
; codeLenInByte = 39724
; NumSgprs: 48
; NumVgprs: 256
; NumAgprs: 256
; TotalNumVgprs: 512
; ScratchSize: 432
; MemoryBound: 0
; FloatMode: 240
; IeeeMode: 1
; LDSByteSize: 25200 bytes/workgroup (compile time only)
; SGPRBlocks: 5
; VGPRBlocks: 63
; NumSGPRsForWavesPerEU: 48
; NumVGPRsForWavesPerEU: 512
; AccumOffset: 256
; Occupancy: 1
; WaveLimiterHint : 1
; COMPUTE_PGM_RSRC2:SCRATCH_EN: 1
; COMPUTE_PGM_RSRC2:USER_SGPR: 6
; COMPUTE_PGM_RSRC2:TRAP_HANDLER: 0
; COMPUTE_PGM_RSRC2:TGID_X_EN: 1
; COMPUTE_PGM_RSRC2:TGID_Y_EN: 0
; COMPUTE_PGM_RSRC2:TGID_Z_EN: 0
; COMPUTE_PGM_RSRC2:TIDIG_COMP_CNT: 0
; COMPUTE_PGM_RSRC3_GFX90A:ACCUM_OFFSET: 63
; COMPUTE_PGM_RSRC3_GFX90A:TG_SPLIT: 0
	.text
	.p2alignl 6, 3212836864
	.fill 256, 4, 3212836864
	.type	__hip_cuid_55002e06a72db8e4,@object ; @__hip_cuid_55002e06a72db8e4
	.section	.bss,"aw",@nobits
	.globl	__hip_cuid_55002e06a72db8e4
__hip_cuid_55002e06a72db8e4:
	.byte	0                               ; 0x0
	.size	__hip_cuid_55002e06a72db8e4, 1

	.ident	"AMD clang version 19.0.0git (https://github.com/RadeonOpenCompute/llvm-project roc-6.4.0 25133 c7fe45cf4b819c5991fe208aaa96edf142730f1d)"
	.section	".note.GNU-stack","",@progbits
	.addrsig
	.addrsig_sym __hip_cuid_55002e06a72db8e4
	.amdgpu_metadata
---
amdhsa.kernels:
  - .agpr_count:     256
    .args:
      - .actual_access:  read_only
        .address_space:  global
        .offset:         0
        .size:           8
        .value_kind:     global_buffer
      - .actual_access:  read_only
        .address_space:  global
        .offset:         8
        .size:           8
        .value_kind:     global_buffer
      - .actual_access:  read_only
        .address_space:  global
        .offset:         16
        .size:           8
        .value_kind:     global_buffer
      - .actual_access:  read_only
        .address_space:  global
        .offset:         24
        .size:           8
        .value_kind:     global_buffer
      - .actual_access:  read_only
        .address_space:  global
        .offset:         32
        .size:           8
        .value_kind:     global_buffer
      - .offset:         40
        .size:           8
        .value_kind:     by_value
      - .address_space:  global
        .offset:         48
        .size:           8
        .value_kind:     global_buffer
      - .address_space:  global
        .offset:         56
        .size:           8
        .value_kind:     global_buffer
      - .address_space:  global
        .offset:         64
        .size:           8
        .value_kind:     global_buffer
      - .address_space:  global
        .offset:         72
        .size:           8
        .value_kind:     global_buffer
      - .offset:         80
        .size:           4
        .value_kind:     by_value
      - .address_space:  global
        .offset:         88
        .size:           8
        .value_kind:     global_buffer
      - .address_space:  global
        .offset:         96
        .size:           8
        .value_kind:     global_buffer
    .group_segment_fixed_size: 25200
    .kernarg_segment_align: 8
    .kernarg_segment_size: 104
    .language:       OpenCL C
    .language_version:
      - 2
      - 0
    .max_flat_workgroup_size: 63
    .name:           bluestein_single_back_len1575_dim1_dp_op_CI_CI
    .private_segment_fixed_size: 432
    .sgpr_count:     48
    .sgpr_spill_count: 0
    .symbol:         bluestein_single_back_len1575_dim1_dp_op_CI_CI.kd
    .uniform_work_group_size: 1
    .uses_dynamic_stack: false
    .vgpr_count:     512
    .vgpr_spill_count: 107
    .wavefront_size: 64
amdhsa.target:   amdgcn-amd-amdhsa--gfx90a
amdhsa.version:
  - 1
  - 2
...

	.end_amdgpu_metadata
